;; amdgpu-corpus repo=ROCm/rocFFT kind=compiled arch=gfx1030 opt=O3
	.text
	.amdgcn_target "amdgcn-amd-amdhsa--gfx1030"
	.amdhsa_code_object_version 6
	.protected	bluestein_single_back_len588_dim1_half_op_CI_CI ; -- Begin function bluestein_single_back_len588_dim1_half_op_CI_CI
	.globl	bluestein_single_back_len588_dim1_half_op_CI_CI
	.p2align	8
	.type	bluestein_single_back_len588_dim1_half_op_CI_CI,@function
bluestein_single_back_len588_dim1_half_op_CI_CI: ; @bluestein_single_back_len588_dim1_half_op_CI_CI
; %bb.0:
	s_load_dwordx4 s[8:11], s[4:5], 0x28
	v_mul_u32_u24_e32 v1, 0x30d, v0
	s_mov_b32 s0, exec_lo
	v_lshrrev_b32_e32 v1, 16, v1
	v_mad_u64_u32 v[10:11], null, s6, 3, v[1:2]
	v_mov_b32_e32 v11, 0
	s_waitcnt lgkmcnt(0)
	v_cmpx_gt_u64_e64 s[8:9], v[10:11]
	s_cbranch_execz .LBB0_18
; %bb.1:
	s_clause 0x1
	s_load_dwordx4 s[0:3], s[4:5], 0x18
	s_load_dwordx4 s[12:15], s[4:5], 0x0
	v_mul_lo_u16 v1, 0x54, v1
	s_load_dwordx2 s[4:5], s[4:5], 0x38
                                        ; implicit-def: $vgpr20
	v_sub_nc_u16 v7, v0, v1
	v_and_b32_e32 v35, 0xffff, v7
	v_lshlrev_b32_e32 v24, 2, v35
	s_waitcnt lgkmcnt(0)
	s_load_dwordx4 s[16:19], s[0:1], 0x0
	s_waitcnt lgkmcnt(0)
	v_mad_u64_u32 v[0:1], null, s18, v10, 0
	v_mad_u64_u32 v[2:3], null, s16, v35, 0
	s_mul_i32 s0, s17, 0x150
	s_mul_hi_u32 s1, s16, 0x150
	s_mul_i32 s6, s16, 0x150
	s_add_i32 s1, s1, s0
	v_mad_u64_u32 v[4:5], null, s19, v10, v[1:2]
	v_mad_u64_u32 v[5:6], null, s17, v35, v[3:4]
	v_mov_b32_e32 v1, v4
	v_lshlrev_b64 v[0:1], 2, v[0:1]
	v_mov_b32_e32 v3, v5
	v_add_co_u32 v0, vcc_lo, s10, v0
	v_lshlrev_b64 v[2:3], 2, v[2:3]
	v_add_co_ci_u32_e32 v1, vcc_lo, s11, v1, vcc_lo
	v_add_co_u32 v0, vcc_lo, v0, v2
	v_add_co_ci_u32_e32 v1, vcc_lo, v1, v3, vcc_lo
	global_load_dword v4, v[0:1], off
	v_add_co_u32 v0, vcc_lo, v0, s6
	v_add_co_ci_u32_e32 v1, vcc_lo, s1, v1, vcc_lo
	s_clause 0x3
	global_load_dword v37, v24, s[12:13]
	global_load_dword v36, v24, s[12:13] offset:336
	global_load_dword v34, v24, s[12:13] offset:672
	;; [unrolled: 1-line block ×3, first 2 shown]
	v_add_co_u32 v2, vcc_lo, v0, s6
	v_add_co_ci_u32_e32 v3, vcc_lo, s1, v1, vcc_lo
	s_clause 0x1
	global_load_dword v5, v[0:1], off
	global_load_dword v6, v[2:3], off
	v_add_co_u32 v0, vcc_lo, v2, s6
	v_add_co_ci_u32_e32 v1, vcc_lo, s1, v3, vcc_lo
	v_add_co_u32 v2, vcc_lo, v0, s6
	v_add_co_ci_u32_e32 v3, vcc_lo, s1, v1, vcc_lo
	s_clause 0x1
	global_load_dword v8, v[0:1], off
	global_load_dword v9, v[2:3], off
	v_add_co_u32 v0, vcc_lo, v2, s6
	v_add_co_ci_u32_e32 v1, vcc_lo, s1, v3, vcc_lo
	v_add_co_u32 v2, vcc_lo, v0, s6
	v_add_co_ci_u32_e32 v3, vcc_lo, s1, v1, vcc_lo
	global_load_dword v32, v24, s[12:13] offset:1344
	global_load_dword v0, v[0:1], off
	global_load_dword v1, v[2:3], off
	s_clause 0x1
	global_load_dword v30, v24, s[12:13] offset:1680
	global_load_dword v29, v24, s[12:13] offset:2016
	v_mul_hi_u32 v2, 0xaaaaaaab, v10
	s_load_dwordx4 s[8:11], s[2:3], 0x0
	v_cmp_gt_u16_e32 vcc_lo, 28, v7
	v_lshrrev_b32_e32 v2, 1, v2
	v_lshl_add_u32 v2, v2, 1, v2
	v_sub_nc_u32_e32 v2, v10, v2
	v_mul_u32_u24_e32 v2, 0x24c, v2
	v_lshlrev_b32_e32 v38, 2, v2
	v_add_nc_u32_e32 v31, v24, v38
	v_add_nc_u32_e32 v14, 0x400, v31
	s_waitcnt vmcnt(13)
	v_lshrrev_b32_e32 v2, 16, v4
	s_waitcnt vmcnt(12)
	v_mul_f16_sdwa v3, v37, v4 dst_sel:DWORD dst_unused:UNUSED_PAD src0_sel:WORD_1 src1_sel:DWORD
	v_mul_f16_sdwa v11, v37, v2 dst_sel:DWORD dst_unused:UNUSED_PAD src0_sel:WORD_1 src1_sel:DWORD
	v_fma_f16 v2, v37, v2, -v3
	s_waitcnt vmcnt(8)
	v_lshrrev_b32_e32 v12, 16, v5
	v_mul_f16_sdwa v13, v36, v5 dst_sel:DWORD dst_unused:UNUSED_PAD src0_sel:WORD_1 src1_sel:DWORD
	v_fmac_f16_e32 v11, v37, v4
	v_mul_f16_sdwa v3, v36, v12 dst_sel:DWORD dst_unused:UNUSED_PAD src0_sel:WORD_1 src1_sel:DWORD
	v_fma_f16 v4, v36, v12, -v13
	s_waitcnt vmcnt(7)
	v_lshrrev_b32_e32 v12, 16, v6
	v_mul_f16_sdwa v13, v34, v6 dst_sel:DWORD dst_unused:UNUSED_PAD src0_sel:WORD_1 src1_sel:DWORD
	v_pack_b32_f16 v2, v11, v2
	v_fmac_f16_e32 v3, v36, v5
	v_mul_f16_sdwa v11, v34, v12 dst_sel:DWORD dst_unused:UNUSED_PAD src0_sel:WORD_1 src1_sel:DWORD
	s_waitcnt vmcnt(6)
	v_lshrrev_b32_e32 v5, 16, v8
	v_fma_f16 v12, v34, v12, -v13
	v_mul_f16_sdwa v13, v33, v8 dst_sel:DWORD dst_unused:UNUSED_PAD src0_sel:WORD_1 src1_sel:DWORD
	v_pack_b32_f16 v3, v3, v4
	v_fmac_f16_e32 v11, v34, v6
	v_mul_f16_sdwa v4, v33, v5 dst_sel:DWORD dst_unused:UNUSED_PAD src0_sel:WORD_1 src1_sel:DWORD
	s_waitcnt vmcnt(5)
	v_lshrrev_b32_e32 v6, 16, v9
	v_fma_f16 v5, v33, v5, -v13
	s_waitcnt vmcnt(4)
	v_mul_f16_sdwa v13, v32, v9 dst_sel:DWORD dst_unused:UNUSED_PAD src0_sel:WORD_1 src1_sel:DWORD
	v_fmac_f16_e32 v4, v33, v8
	s_waitcnt vmcnt(3)
	v_lshrrev_b32_e32 v8, 16, v0
	s_waitcnt vmcnt(2)
	v_lshrrev_b32_e32 v16, 16, v1
	v_mul_f16_sdwa v15, v32, v6 dst_sel:DWORD dst_unused:UNUSED_PAD src0_sel:WORD_1 src1_sel:DWORD
	v_fma_f16 v6, v32, v6, -v13
	s_waitcnt vmcnt(1)
	v_mul_f16_sdwa v13, v30, v0 dst_sel:DWORD dst_unused:UNUSED_PAD src0_sel:WORD_1 src1_sel:DWORD
	v_mul_f16_sdwa v17, v30, v8 dst_sel:DWORD dst_unused:UNUSED_PAD src0_sel:WORD_1 src1_sel:DWORD
	s_waitcnt vmcnt(0)
	v_mul_f16_sdwa v18, v29, v1 dst_sel:DWORD dst_unused:UNUSED_PAD src0_sel:WORD_1 src1_sel:DWORD
	v_mul_f16_sdwa v19, v29, v16 dst_sel:DWORD dst_unused:UNUSED_PAD src0_sel:WORD_1 src1_sel:DWORD
	v_fmac_f16_e32 v15, v32, v9
	v_fma_f16 v8, v30, v8, -v13
	v_fmac_f16_e32 v17, v30, v0
	v_fma_f16 v0, v29, v16, -v18
	v_fmac_f16_e32 v19, v29, v1
	v_pack_b32_f16 v1, v11, v12
	v_pack_b32_f16 v4, v4, v5
	;; [unrolled: 1-line block ×5, first 2 shown]
	ds_write2_b32 v31, v2, v3 offset1:84
	ds_write2_b32 v31, v1, v4 offset0:168 offset1:252
	ds_write2_b32 v14, v5, v6 offset0:80 offset1:164
	ds_write_b32 v31, v0 offset:2016
	s_waitcnt lgkmcnt(0)
	s_barrier
	buffer_gl0_inv
	ds_read2_b32 v[0:1], v31 offset1:84
	ds_read2_b32 v[2:3], v31 offset0:168 offset1:252
	ds_read_b32 v8, v31 offset:2016
	ds_read2_b32 v[4:5], v14 offset0:80 offset1:164
	v_mul_lo_u16 v6, v7, 7
	s_waitcnt lgkmcnt(0)
	s_barrier
	buffer_gl0_inv
                                        ; implicit-def: $vgpr19
	v_and_b32_e32 v6, 0xffff, v6
	v_lshl_add_u32 v23, v6, 2, v38
	v_add_nc_u32_e32 v6, 0x200, v31
	v_pk_add_f16 v9, v1, v8
	v_pk_add_f16 v11, v2, v5
	;; [unrolled: 1-line block ×3, first 2 shown]
	v_pk_add_f16 v2, v2, v5 neg_lo:[0,1] neg_hi:[0,1]
	v_pk_add_f16 v3, v4, v3 neg_lo:[0,1] neg_hi:[0,1]
	;; [unrolled: 1-line block ×3, first 2 shown]
	v_pk_add_f16 v4, v11, v9
	v_pk_add_f16 v5, v11, v9 neg_lo:[0,1] neg_hi:[0,1]
	v_pk_add_f16 v8, v9, v12 neg_lo:[0,1] neg_hi:[0,1]
	v_pk_add_f16 v9, v3, v2
	v_pk_add_f16 v13, v1, v3 neg_lo:[0,1] neg_hi:[0,1]
	v_pk_add_f16 v15, v2, v1 neg_lo:[0,1] neg_hi:[0,1]
	;; [unrolled: 1-line block ×3, first 2 shown]
	v_pk_add_f16 v3, v12, v4
	v_pk_add_f16 v11, v12, v11 neg_lo:[0,1] neg_hi:[0,1]
	v_pk_mul_f16 v4, 0x3a52, v8 op_sel_hi:[0,1]
	v_pk_mul_f16 v5, 0x39e0, v5 op_sel_hi:[0,1]
	;; [unrolled: 1-line block ×3, first 2 shown]
	v_pk_add_f16 v0, v0, v3
	v_pk_add_f16 v1, v9, v1
	v_pk_mul_f16 v9, 0x3574, v13 op_sel_hi:[0,1]
	v_pk_add_f16 v12, v4, v5 op_sel:[1,1] op_sel_hi:[0,0] neg_lo:[1,1] neg_hi:[1,1]
	v_pk_fma_f16 v13, 0x3574, v13, v8 op_sel_hi:[0,1,1] neg_lo:[0,1,1] neg_hi:[0,1,1]
	v_pk_fma_f16 v5, 0x2b26, v11, v5 op_sel_hi:[0,1,1] neg_lo:[0,1,0] neg_hi:[0,1,0]
	v_pk_fma_f16 v3, 0xbcab, v3, v0 op_sel_hi:[0,1,1]
	v_pk_fma_f16 v8, 0xb846, v2, v8 op_sel_hi:[0,1,1] neg_lo:[0,1,0] neg_hi:[0,1,0]
	v_pk_fma_f16 v4, 0x2b26, v11, v4 op_sel_hi:[0,1,1]
	v_pk_fma_f16 v2, 0xb846, v2, v9 op_sel_hi:[0,1,1]
	;; [unrolled: 1-line block ×3, first 2 shown]
	v_pk_add_f16 v11, v12, v3 op_sel:[0,1] op_sel_hi:[1,0]
	v_pk_fma_f16 v8, 0x370e, v1, v8 op_sel_hi:[0,1,1]
	v_pk_add_f16 v5, v5, v3
	v_pk_fma_f16 v1, 0x370e, v1, v2 op_sel_hi:[0,1,1]
	v_pk_add_f16 v2, v4, v3
	v_pk_add_f16 v3, v11, v9
	v_pk_add_f16 v4, v11, v9 neg_lo:[0,1] neg_hi:[0,1]
	v_pk_add_f16 v9, v5, v8 op_sel:[0,1] op_sel_hi:[1,0] neg_lo:[0,1] neg_hi:[0,1]
	v_pk_add_f16 v5, v5, v8 op_sel:[0,1] op_sel_hi:[1,0]
	v_pk_add_f16 v8, v2, v1 op_sel:[0,1] op_sel_hi:[1,0]
	v_pk_add_f16 v11, v2, v1 op_sel:[0,1] op_sel_hi:[1,0] neg_lo:[0,1] neg_hi:[0,1]
	v_alignbit_b32 v1, v4, v3, 16
	v_alignbit_b32 v3, v3, v4, 16
	v_bfi_b32 v2, 0xffff, v9, v5
	v_bfi_b32 v5, 0xffff, v5, v9
	;; [unrolled: 1-line block ×4, first 2 shown]
	ds_write2_b32 v23, v1, v2 offset0:2 offset1:3
	ds_write2_b32 v23, v5, v3 offset0:4 offset1:5
	ds_write2_b32 v23, v0, v4 offset1:1
	ds_write_b32 v23, v9 offset:24
	s_waitcnt lgkmcnt(0)
	s_barrier
	buffer_gl0_inv
	ds_read2_b32 v[0:1], v31 offset1:84
	ds_read2_b32 v[2:3], v6 offset0:68 offset1:152
	ds_read2_b32 v[4:5], v14 offset0:136 offset1:220
	v_lshrrev_b32_e32 v41, 16, v8
                                        ; implicit-def: $vgpr9
	s_and_saveexec_b32 s0, vcc_lo
	s_cbranch_execz .LBB0_3
; %bb.2:
	ds_read2_b32 v[11:12], v6 offset0:40 offset1:236
	ds_read_b32 v9, v31 offset:2240
	s_waitcnt lgkmcnt(1)
	v_lshrrev_b32_e32 v41, 16, v11
	v_lshrrev_b32_e32 v20, 16, v12
	s_waitcnt lgkmcnt(0)
	v_lshrrev_b32_e32 v19, 16, v9
.LBB0_3:
	s_or_b32 exec_lo, exec_lo, s0
	v_and_b32_e32 v7, 0xff, v35
	v_add_nc_u16 v6, v35, 0x54
	v_add_nc_u16 v14, v35, 0xa8
	s_waitcnt lgkmcnt(1)
	v_lshrrev_b32_e32 v42, 16, v2
	s_waitcnt lgkmcnt(0)
	v_lshrrev_b32_e32 v43, 16, v4
	v_mul_lo_u16 v13, v7, 37
	v_and_b32_e32 v8, 0xff, v6
	v_and_b32_e32 v15, 0xff, v14
	v_lshrrev_b32_e32 v46, 16, v3
	v_lshrrev_b32_e32 v47, 16, v5
	v_lshrrev_b16 v13, 8, v13
	v_mul_lo_u16 v16, v8, 37
	v_mul_lo_u16 v15, v15, 37
	v_lshrrev_b32_e32 v28, 16, v0
	v_sub_nc_u16 v17, v35, v13
	v_lshrrev_b16 v16, 8, v16
	v_lshrrev_b16 v15, 8, v15
	;; [unrolled: 1-line block ×3, first 2 shown]
	v_sub_nc_u16 v18, v6, v16
	v_sub_nc_u16 v21, v14, v15
	v_and_b32_e32 v17, 0x7f, v17
	v_lshrrev_b16 v18, 1, v18
	v_add_nc_u16 v13, v17, v13
	v_lshrrev_b16 v17, 1, v21
	v_and_b32_e32 v18, 0x7f, v18
	v_mov_b32_e32 v21, 3
	v_lshrrev_b16 v22, 2, v13
	v_and_b32_e32 v13, 0x7f, v17
	v_add_nc_u16 v16, v18, v16
	v_mul_lo_u16 v17, v22, 7
	v_add_nc_u16 v13, v13, v15
	v_lshrrev_b16 v25, 2, v16
	v_sub_nc_u16 v26, v35, v17
	v_lshrrev_b16 v39, 2, v13
	v_mul_lo_u16 v13, v25, 7
	v_lshlrev_b32_sdwa v15, v21, v26 dst_sel:DWORD dst_unused:UNUSED_PAD src0_sel:DWORD src1_sel:BYTE_0
	v_mul_lo_u16 v16, v39, 7
	v_sub_nc_u16 v27, v6, v13
	global_load_dwordx2 v[17:18], v15, s[14:15]
	v_sub_nc_u16 v40, v14, v16
	v_lshlrev_b32_sdwa v13, v21, v27 dst_sel:DWORD dst_unused:UNUSED_PAD src0_sel:DWORD src1_sel:BYTE_0
	v_lshlrev_b32_sdwa v14, v21, v40 dst_sel:DWORD dst_unused:UNUSED_PAD src0_sel:DWORD src1_sel:BYTE_0
	v_mov_b32_e32 v21, 21
	s_clause 0x1
	global_load_dwordx2 v[15:16], v13, s[14:15]
	global_load_dwordx2 v[13:14], v14, s[14:15]
	s_waitcnt vmcnt(0)
	v_mul_u32_u24_sdwa v22, v22, v21 dst_sel:DWORD dst_unused:UNUSED_PAD src0_sel:WORD_0 src1_sel:DWORD
	s_barrier
	buffer_gl0_inv
	v_add_nc_u32_sdwa v22, v22, v26 dst_sel:DWORD dst_unused:UNUSED_PAD src0_sel:DWORD src1_sel:BYTE_0
	v_mul_u32_u24_sdwa v26, v25, v21 dst_sel:DWORD dst_unused:UNUSED_PAD src0_sel:WORD_0 src1_sel:DWORD
	v_lshrrev_b32_e32 v25, 16, v1
	v_lshl_add_u32 v44, v22, 2, v38
	v_add_nc_u32_sdwa v22, v26, v27 dst_sel:DWORD dst_unused:UNUSED_PAD src0_sel:DWORD src1_sel:BYTE_0
	v_lshl_add_u32 v45, v22, 2, v38
	v_mul_f16_sdwa v26, v42, v17 dst_sel:DWORD dst_unused:UNUSED_PAD src0_sel:DWORD src1_sel:WORD_1
	v_mul_f16_sdwa v27, v2, v17 dst_sel:DWORD dst_unused:UNUSED_PAD src0_sel:DWORD src1_sel:WORD_1
	;; [unrolled: 1-line block ×4, first 2 shown]
	v_fma_f16 v2, v2, v17, -v26
	v_fmac_f16_e32 v27, v42, v17
	v_fma_f16 v4, v4, v18, -v48
	v_fmac_f16_e32 v49, v43, v18
	v_mul_f16_sdwa v22, v46, v15 dst_sel:DWORD dst_unused:UNUSED_PAD src0_sel:DWORD src1_sel:WORD_1
	v_mul_f16_sdwa v26, v3, v15 dst_sel:DWORD dst_unused:UNUSED_PAD src0_sel:DWORD src1_sel:WORD_1
	;; [unrolled: 1-line block ×8, first 2 shown]
	v_fma_f16 v3, v3, v15, -v22
	v_fmac_f16_e32 v26, v46, v15
	v_fma_f16 v5, v5, v16, -v42
	v_fmac_f16_e32 v43, v47, v16
	v_fmac_f16_e32 v50, v20, v13
	;; [unrolled: 1-line block ×3, first 2 shown]
	v_add_f16_e32 v19, v0, v2
	v_add_f16_e32 v20, v2, v4
	v_sub_f16_e32 v22, v27, v49
	v_add_f16_e32 v42, v28, v27
	v_add_f16_e32 v27, v27, v49
	v_fma_f16 v12, v12, v13, -v48
	v_fma_f16 v9, v9, v14, -v51
	v_sub_f16_e32 v2, v2, v4
	v_add_f16_e32 v4, v19, v4
	v_fma_f16 v19, -0.5, v20, v0
	v_add_f16_e32 v0, v42, v49
	v_fmac_f16_e32 v28, -0.5, v27
	v_add_f16_e32 v27, v3, v5
	v_sub_f16_e32 v42, v26, v43
	v_add_f16_e32 v46, v25, v26
	v_add_f16_e32 v26, v26, v43
	;; [unrolled: 1-line block ×3, first 2 shown]
	v_sub_f16_e32 v49, v50, v52
	v_add_f16_e32 v51, v41, v50
	v_add_f16_e32 v50, v50, v52
	;; [unrolled: 1-line block ×3, first 2 shown]
	v_sub_f16_e32 v3, v3, v5
	v_fmac_f16_e32 v1, -0.5, v27
	v_fmac_f16_e32 v25, -0.5, v26
	v_add_f16_e32 v47, v11, v12
	v_sub_f16_e32 v53, v12, v9
	v_fmamk_f16 v54, v22, 0x3aee, v19
	v_fmac_f16_e32 v19, 0xbaee, v22
	v_fmamk_f16 v22, v2, 0xbaee, v28
	v_fmac_f16_e32 v11, -0.5, v48
	v_fmac_f16_e32 v41, -0.5, v50
	v_fmac_f16_e32 v28, 0x3aee, v2
	v_add_f16_e32 v5, v20, v5
	v_add_f16_e32 v20, v46, v43
	v_pack_b32_f16 v4, v4, v0
	v_fmamk_f16 v0, v42, 0x3aee, v1
	v_fmamk_f16 v26, v3, 0xbaee, v25
	v_fmac_f16_e32 v1, 0xbaee, v42
	v_fmac_f16_e32 v25, 0x3aee, v3
	v_add_f16_e32 v2, v47, v9
	v_add_f16_e32 v12, v51, v52
	v_fmamk_f16 v3, v49, 0x3aee, v11
	v_fmac_f16_e32 v11, 0xbaee, v49
	v_fmamk_f16 v27, v53, 0xbaee, v41
	v_pack_b32_f16 v9, v54, v22
	v_fmac_f16_e32 v41, 0x3aee, v53
	v_pack_b32_f16 v19, v19, v28
	v_pack_b32_f16 v5, v5, v20
	;; [unrolled: 1-line block ×4, first 2 shown]
	ds_write2_b32 v44, v4, v9 offset1:7
	ds_write_b32 v44, v19 offset:56
	ds_write2_b32 v45, v5, v20 offset1:7
	ds_write_b32 v45, v22 offset:56
	s_and_saveexec_b32 s0, vcc_lo
	s_cbranch_execz .LBB0_5
; %bb.4:
	v_mul_u32_u24_sdwa v4, v39, v21 dst_sel:DWORD dst_unused:UNUSED_PAD src0_sel:WORD_0 src1_sel:DWORD
	v_perm_b32 v5, v12, v2, 0x5040100
	v_perm_b32 v9, v27, v3, 0x5040100
	;; [unrolled: 1-line block ×3, first 2 shown]
	v_add_nc_u32_sdwa v4, v4, v40 dst_sel:DWORD dst_unused:UNUSED_PAD src0_sel:DWORD src1_sel:BYTE_0
	v_lshl_add_u32 v4, v4, 2, v38
	ds_write2_b32 v4, v5, v9 offset1:7
	ds_write_b32 v4, v19 offset:56
.LBB0_5:
	s_or_b32 exec_lo, exec_lo, s0
	v_add_nc_u32_e32 v4, 0x400, v31
	s_waitcnt lgkmcnt(0)
	s_barrier
	buffer_gl0_inv
	ds_read2_b32 v[19:20], v31 offset1:147
	ds_read2_b32 v[21:22], v4 offset0:38 offset1:185
	v_cmp_gt_u16_e64 s0, 63, v35
	s_and_saveexec_b32 s1, s0
	s_cbranch_execz .LBB0_7
; %bb.6:
	v_add_nc_u32_e32 v2, 0x500, v31
	ds_read2_b32 v[0:1], v31 offset0:84 offset1:231
	ds_read2_b32 v[2:3], v2 offset0:58 offset1:205
	s_waitcnt lgkmcnt(1)
	v_lshrrev_b32_e32 v26, 16, v0
	v_lshrrev_b32_e32 v25, 16, v1
	s_waitcnt lgkmcnt(0)
	v_lshrrev_b32_e32 v12, 16, v2
	v_lshrrev_b32_e32 v27, 16, v3
.LBB0_7:
	s_or_b32 exec_lo, exec_lo, s1
	v_mul_lo_u16 v4, 0x87, v7
	v_mul_lo_u16 v5, 0x87, v8
	v_mov_b32_e32 v28, 0x54
	s_waitcnt lgkmcnt(0)
	v_lshrrev_b32_e32 v50, 16, v21
	v_lshrrev_b32_e32 v51, 16, v22
	v_lshrrev_b16 v4, 8, v4
	v_lshrrev_b16 v5, 8, v5
	v_sub_nc_u16 v7, v35, v4
	v_sub_nc_u16 v8, v6, v5
	v_lshrrev_b16 v7, 1, v7
	v_lshrrev_b16 v8, 1, v8
	v_and_b32_e32 v7, 0x7f, v7
	v_add_nc_u16 v4, v7, v4
	v_and_b32_e32 v7, 0x7f, v8
	v_lshrrev_b16 v4, 4, v4
	v_add_nc_u16 v5, v7, v5
	v_and_b32_e32 v48, 15, v4
	v_lshrrev_b16 v4, 4, v5
	v_mul_lo_u16 v5, v48, 21
	v_and_b32_e32 v42, 15, v4
	v_sub_nc_u16 v4, v35, v5
	v_mul_lo_u16 v5, v42, 21
	v_and_b32_e32 v49, 0xff, v4
	v_sub_nc_u16 v6, v6, v5
	v_mad_u64_u32 v[4:5], null, v49, 12, s[14:15]
	v_and_b32_e32 v43, 0xff, v6
	v_mad_u64_u32 v[46:47], null, v43, 12, s[14:15]
	s_clause 0x1
	global_load_dwordx3 v[7:9], v[4:5], off offset:56
	global_load_dwordx3 v[4:6], v[46:47], off offset:56
	v_mul_u32_u24_sdwa v46, v48, v28 dst_sel:DWORD dst_unused:UNUSED_PAD src0_sel:WORD_0 src1_sel:DWORD
	v_lshrrev_b32_e32 v48, 16, v19
	s_waitcnt vmcnt(0)
	s_barrier
	buffer_gl0_inv
	v_add_nc_u32_e32 v46, v46, v49
	v_lshrrev_b32_e32 v49, 16, v20
	v_lshl_add_u32 v46, v46, 2, v38
	v_mul_f16_sdwa v52, v49, v7 dst_sel:DWORD dst_unused:UNUSED_PAD src0_sel:DWORD src1_sel:WORD_1
	v_mul_f16_sdwa v53, v20, v7 dst_sel:DWORD dst_unused:UNUSED_PAD src0_sel:DWORD src1_sel:WORD_1
	;; [unrolled: 1-line block ×8, first 2 shown]
	v_fma_f16 v20, v20, v7, -v52
	v_fmac_f16_e32 v53, v49, v7
	v_fma_f16 v21, v21, v8, -v54
	v_fmac_f16_e32 v55, v50, v8
	;; [unrolled: 2-line block ×3, first 2 shown]
	v_mul_f16_sdwa v58, v25, v4 dst_sel:DWORD dst_unused:UNUSED_PAD src0_sel:DWORD src1_sel:WORD_1
	v_mul_f16_sdwa v61, v27, v6 dst_sel:DWORD dst_unused:UNUSED_PAD src0_sel:DWORD src1_sel:WORD_1
	v_fmac_f16_e32 v47, v25, v4
	v_fmac_f16_e32 v62, v27, v6
	v_sub_f16_e32 v21, v19, v21
	v_sub_f16_e32 v25, v48, v55
	;; [unrolled: 1-line block ×4, first 2 shown]
	v_mul_f16_sdwa v59, v12, v5 dst_sel:DWORD dst_unused:UNUSED_PAD src0_sel:DWORD src1_sel:WORD_1
	v_mul_f16_sdwa v60, v2, v5 dst_sel:DWORD dst_unused:UNUSED_PAD src0_sel:DWORD src1_sel:WORD_1
	v_fma_f16 v49, v19, 2.0, -v21
	v_fma_f16 v48, v48, 2.0, -v25
	;; [unrolled: 1-line block ×4, first 2 shown]
	v_fma_f16 v1, v1, v4, -v58
	v_fma_f16 v2, v2, v5, -v59
	v_fmac_f16_e32 v60, v12, v5
	v_fma_f16 v12, v3, v6, -v61
	v_sub_f16_e32 v27, v21, v27
	v_add_f16_e32 v50, v25, v22
	v_sub_f16_e32 v51, v49, v19
	v_sub_f16_e32 v52, v48, v20
	;; [unrolled: 1-line block ×5, first 2 shown]
	v_fma_f16 v21, v21, 2.0, -v27
	v_fma_f16 v25, v25, 2.0, -v50
	;; [unrolled: 1-line block ×4, first 2 shown]
	v_sub_f16_e32 v20, v1, v12
	v_sub_f16_e32 v22, v2, v19
	v_pack_b32_f16 v21, v21, v25
	v_pack_b32_f16 v27, v27, v50
	;; [unrolled: 1-line block ×3, first 2 shown]
	v_add_f16_e32 v12, v3, v20
	v_pack_b32_f16 v48, v51, v52
	ds_write2_b32 v46, v25, v21 offset1:21
	ds_write2_b32 v46, v48, v27 offset0:42 offset1:63
	s_and_saveexec_b32 s1, s0
	s_cbranch_execz .LBB0_9
; %bb.8:
	v_fma_f16 v0, v0, 2.0, -v2
	v_fma_f16 v1, v1, 2.0, -v20
	;; [unrolled: 1-line block ×4, first 2 shown]
	v_mul_u32_u24_sdwa v21, v42, v28 dst_sel:DWORD dst_unused:UNUSED_PAD src0_sel:WORD_0 src1_sel:DWORD
	v_fma_f16 v2, v2, 2.0, -v22
	v_sub_f16_e32 v1, v0, v1
	v_fma_f16 v3, v3, 2.0, -v12
	v_sub_f16_e32 v19, v20, v19
	v_add_nc_u32_e32 v21, v21, v43
	v_perm_b32 v25, v12, v22, 0x5040100
	v_fma_f16 v0, v0, 2.0, -v1
	v_pack_b32_f16 v2, v2, v3
	v_fma_f16 v20, v20, 2.0, -v19
	v_lshl_add_u32 v3, v21, 2, v38
	v_pack_b32_f16 v1, v1, v19
	v_pack_b32_f16 v0, v0, v20
	ds_write2_b32 v3, v0, v2 offset1:21
	ds_write2_b32 v3, v1, v25 offset0:42 offset1:63
.LBB0_9:
	s_or_b32 exec_lo, exec_lo, s1
	v_mad_u64_u32 v[19:20], null, v35, 24, s[14:15]
	s_waitcnt lgkmcnt(0)
	s_barrier
	buffer_gl0_inv
	v_add_nc_u32_e32 v51, 0x400, v31
	v_add_co_u32 v24, s1, s12, v24
	s_clause 0x1
	global_load_dwordx4 v[0:3], v[19:20], off offset:308
	global_load_dwordx2 v[19:20], v[19:20], off offset:324
	ds_read2_b32 v[25:26], v31 offset1:84
	ds_read2_b32 v[27:28], v31 offset0:168 offset1:252
	ds_read_b32 v21, v31 offset:2016
	ds_read2_b32 v[47:48], v51 offset0:80 offset1:164
	v_add_co_ci_u32_e64 v52, null, s13, 0, s1
	v_add_co_u32 v49, s1, 0x930, v24
	v_add_co_ci_u32_e64 v50, s1, 0, v52, s1
	v_add_co_u32 v24, s1, 0x800, v24
	s_waitcnt lgkmcnt(3)
	v_lshrrev_b32_e32 v53, 16, v26
	s_waitcnt lgkmcnt(2)
	v_lshrrev_b32_e32 v54, 16, v27
	;; [unrolled: 2-line block ×4, first 2 shown]
	v_lshrrev_b32_e32 v55, 16, v28
	v_lshrrev_b32_e32 v57, 16, v47
	s_waitcnt vmcnt(1)
	v_mul_f16_sdwa v59, v53, v0 dst_sel:DWORD dst_unused:UNUSED_PAD src0_sel:DWORD src1_sel:WORD_1
	v_mul_f16_sdwa v60, v26, v0 dst_sel:DWORD dst_unused:UNUSED_PAD src0_sel:DWORD src1_sel:WORD_1
	;; [unrolled: 1-line block ×4, first 2 shown]
	s_waitcnt vmcnt(0)
	v_mul_f16_sdwa v67, v58, v19 dst_sel:DWORD dst_unused:UNUSED_PAD src0_sel:DWORD src1_sel:WORD_1
	v_mul_f16_sdwa v68, v48, v19 dst_sel:DWORD dst_unused:UNUSED_PAD src0_sel:DWORD src1_sel:WORD_1
	;; [unrolled: 1-line block ×8, first 2 shown]
	v_fma_f16 v26, v26, v0, -v59
	v_fmac_f16_e32 v60, v53, v0
	v_fma_f16 v27, v27, v1, -v61
	v_fmac_f16_e32 v62, v54, v1
	;; [unrolled: 2-line block ×6, first 2 shown]
	v_add_f16_e32 v53, v26, v21
	v_add_f16_e32 v54, v60, v70
	v_add_f16_e32 v55, v27, v48
	v_add_f16_e32 v56, v62, v68
	v_sub_f16_e32 v21, v26, v21
	v_sub_f16_e32 v26, v60, v70
	v_sub_f16_e32 v27, v27, v48
	v_sub_f16_e32 v48, v62, v68
	v_add_f16_e32 v57, v28, v47
	v_add_f16_e32 v58, v64, v66
	v_sub_f16_e32 v28, v47, v28
	v_sub_f16_e32 v47, v66, v64
	v_add_f16_e32 v59, v55, v53
	v_add_f16_e32 v60, v56, v54
	v_sub_f16_e32 v61, v55, v53
	v_sub_f16_e32 v62, v56, v54
	;; [unrolled: 1-line block ×6, first 2 shown]
	v_add_f16_e32 v63, v28, v27
	v_add_f16_e32 v64, v47, v48
	v_sub_f16_e32 v65, v28, v27
	v_sub_f16_e32 v66, v47, v48
	;; [unrolled: 1-line block ×4, first 2 shown]
	v_add_f16_e32 v57, v57, v59
	v_add_f16_e32 v58, v58, v60
	v_sub_f16_e32 v28, v21, v28
	v_sub_f16_e32 v47, v26, v47
	v_add_f16_e32 v21, v63, v21
	v_add_f16_e32 v26, v64, v26
	v_mul_f16_e32 v53, 0x3a52, v53
	v_mul_f16_e32 v54, 0x3a52, v54
	;; [unrolled: 1-line block ×8, first 2 shown]
	v_add_f16_e32 v67, v25, v57
	v_add_f16_sdwa v25, v25, v58 dst_sel:DWORD dst_unused:UNUSED_PAD src0_sel:WORD_1 src1_sel:DWORD
	v_fmamk_f16 v55, v55, 0x2b26, v53
	v_fmamk_f16 v56, v56, 0x2b26, v54
	v_fma_f16 v59, v61, 0x39e0, -v59
	v_fma_f16 v60, v62, 0x39e0, -v60
	;; [unrolled: 1-line block ×4, first 2 shown]
	v_fmamk_f16 v61, v28, 0x3574, v63
	v_fmamk_f16 v62, v47, 0x3574, v64
	v_fma_f16 v27, v27, 0x3b00, -v63
	v_fma_f16 v48, v48, 0x3b00, -v64
	v_fmac_f16_e32 v65, 0xb574, v28
	v_fmac_f16_e32 v66, 0xb574, v47
	v_fmamk_f16 v28, v57, 0xbcab, v67
	v_fmamk_f16 v47, v58, 0xbcab, v25
	v_fmac_f16_e32 v61, 0x370e, v21
	v_fmac_f16_e32 v62, 0x370e, v26
	;; [unrolled: 1-line block ×6, first 2 shown]
	v_pack_b32_f16 v21, v67, v25
	v_add_f16_e32 v25, v55, v28
	v_add_f16_e32 v26, v56, v47
	;; [unrolled: 1-line block ×7, first 2 shown]
	v_sub_f16_e32 v56, v26, v61
	v_sub_f16_e32 v25, v25, v62
	v_add_f16_e32 v26, v61, v26
	v_add_f16_e32 v57, v66, v28
	v_sub_f16_e32 v58, v53, v65
	v_sub_f16_e32 v59, v55, v48
	v_add_f16_e32 v60, v27, v47
	v_add_f16_e32 v48, v48, v55
	v_sub_f16_e32 v27, v47, v27
	v_sub_f16_e32 v28, v28, v66
	v_add_f16_e32 v47, v65, v53
	v_pack_b32_f16 v53, v54, v56
	v_pack_b32_f16 v26, v25, v26
	v_add_co_ci_u32_e64 v25, s1, 0, v52, s1
	v_pack_b32_f16 v54, v57, v58
	v_pack_b32_f16 v55, v59, v60
	;; [unrolled: 1-line block ×4, first 2 shown]
	ds_write2_b32 v31, v21, v53 offset1:84
	ds_write2_b32 v31, v54, v55 offset0:168 offset1:252
	ds_write2_b32 v51, v27, v28 offset0:80 offset1:164
	ds_write_b32 v31, v26 offset:2016
	s_waitcnt lgkmcnt(0)
	s_barrier
	buffer_gl0_inv
	s_clause 0x6
	global_load_dword v21, v[24:25], off offset:304
	global_load_dword v28, v[49:50], off offset:336
	;; [unrolled: 1-line block ×7, first 2 shown]
	ds_read2_b32 v[24:25], v31 offset1:84
	ds_read2_b32 v[26:27], v31 offset0:168 offset1:252
	ds_read2_b32 v[47:48], v51 offset0:80 offset1:164
	ds_read_b32 v50, v31 offset:2016
	s_waitcnt lgkmcnt(3)
	v_lshrrev_b32_e32 v56, 16, v24
	v_lshrrev_b32_e32 v57, 16, v25
	s_waitcnt lgkmcnt(2)
	v_lshrrev_b32_e32 v58, 16, v26
	v_lshrrev_b32_e32 v59, 16, v27
	;; [unrolled: 3-line block ×3, first 2 shown]
	s_waitcnt lgkmcnt(0)
	v_lshrrev_b32_e32 v62, 16, v50
	s_waitcnt vmcnt(6)
	v_mul_f16_sdwa v63, v56, v21 dst_sel:DWORD dst_unused:UNUSED_PAD src0_sel:DWORD src1_sel:WORD_1
	v_mul_f16_sdwa v64, v24, v21 dst_sel:DWORD dst_unused:UNUSED_PAD src0_sel:DWORD src1_sel:WORD_1
	s_waitcnt vmcnt(5)
	v_mul_f16_sdwa v65, v57, v28 dst_sel:DWORD dst_unused:UNUSED_PAD src0_sel:DWORD src1_sel:WORD_1
	v_mul_f16_sdwa v66, v25, v28 dst_sel:DWORD dst_unused:UNUSED_PAD src0_sel:DWORD src1_sel:WORD_1
	;; [unrolled: 3-line block ×7, first 2 shown]
	v_fma_f16 v24, v24, v21, -v63
	v_fmac_f16_e32 v64, v56, v21
	v_fma_f16 v21, v25, v28, -v65
	v_fmac_f16_e32 v66, v57, v28
	;; [unrolled: 2-line block ×7, first 2 shown]
	v_pack_b32_f16 v24, v24, v64
	v_pack_b32_f16 v21, v21, v66
	v_pack_b32_f16 v25, v25, v68
	v_pack_b32_f16 v26, v26, v70
	v_pack_b32_f16 v27, v27, v72
	v_pack_b32_f16 v28, v28, v74
	v_pack_b32_f16 v47, v47, v76
	ds_write2_b32 v31, v24, v21 offset1:84
	ds_write2_b32 v31, v25, v26 offset0:168 offset1:252
	ds_write2_b32 v51, v27, v28 offset0:80 offset1:164
	ds_write_b32 v31, v47 offset:2016
	s_waitcnt lgkmcnt(0)
	s_barrier
	buffer_gl0_inv
	ds_read2_b32 v[24:25], v31 offset1:84
	ds_read2_b32 v[26:27], v31 offset0:168 offset1:252
	ds_read_b32 v21, v31 offset:2016
	ds_read2_b32 v[48:49], v51 offset0:80 offset1:164
	v_add_nc_u32_e32 v47, 0x200, v31
	s_waitcnt lgkmcnt(0)
	s_barrier
	buffer_gl0_inv
	v_pk_add_f16 v28, v25, v21
	v_pk_add_f16 v50, v26, v49
	;; [unrolled: 1-line block ×3, first 2 shown]
	v_pk_add_f16 v26, v26, v49 neg_lo:[0,1] neg_hi:[0,1]
	v_pk_add_f16 v21, v25, v21 neg_lo:[0,1] neg_hi:[0,1]
	;; [unrolled: 1-line block ×3, first 2 shown]
	v_pk_add_f16 v25, v50, v28
	v_pk_add_f16 v48, v50, v28 neg_lo:[0,1] neg_hi:[0,1]
	v_pk_add_f16 v28, v28, v52 neg_lo:[0,1] neg_hi:[0,1]
	;; [unrolled: 1-line block ×3, first 2 shown]
	v_pk_add_f16 v49, v27, v26
	v_pk_add_f16 v25, v52, v25
	v_pk_add_f16 v53, v21, v27 neg_lo:[0,1] neg_hi:[0,1]
	v_pk_add_f16 v50, v52, v50 neg_lo:[0,1] neg_hi:[0,1]
	;; [unrolled: 1-line block ×3, first 2 shown]
	v_pk_mul_f16 v27, 0x3a52, v28 op_sel_hi:[0,1]
	v_pk_mul_f16 v28, 0x39e0, v48 op_sel_hi:[0,1]
	;; [unrolled: 1-line block ×3, first 2 shown]
	v_pk_add_f16 v24, v24, v25
	v_pk_add_f16 v21, v49, v21
	v_pk_mul_f16 v49, 0xb574, v53 op_sel_hi:[0,1]
	v_pk_add_f16 v52, v27, v28 op_sel:[1,1] op_sel_hi:[0,0] neg_lo:[1,1] neg_hi:[1,1]
	v_pk_fma_f16 v53, 0xb574, v53, v48 op_sel_hi:[0,1,1] neg_lo:[0,1,1] neg_hi:[0,1,1]
	v_pk_fma_f16 v28, 0x2b26, v50, v28 op_sel_hi:[0,1,1] neg_lo:[0,1,0] neg_hi:[0,1,0]
	v_pk_fma_f16 v25, 0xbcab, v25, v24 op_sel_hi:[0,1,1]
	v_pk_fma_f16 v48, 0x3846, v26, v48 op_sel_hi:[0,1,1] neg_lo:[0,1,0] neg_hi:[0,1,0]
	v_pk_fma_f16 v27, 0x2b26, v50, v27 op_sel_hi:[0,1,1]
	v_pk_fma_f16 v26, 0x3846, v26, v49 op_sel_hi:[0,1,1]
	;; [unrolled: 1-line block ×3, first 2 shown]
	v_pk_add_f16 v50, v52, v25 op_sel:[0,1] op_sel_hi:[1,0]
	v_pk_fma_f16 v48, 0xb70e, v21, v48 op_sel_hi:[0,1,1]
	v_pk_add_f16 v28, v28, v25
	v_pk_fma_f16 v21, 0xb70e, v21, v26 op_sel_hi:[0,1,1]
	v_pk_add_f16 v25, v27, v25
	v_pk_add_f16 v26, v50, v49
	v_pk_add_f16 v27, v50, v49 neg_lo:[0,1] neg_hi:[0,1]
	v_pk_add_f16 v49, v28, v48 op_sel:[0,1] op_sel_hi:[1,0] neg_lo:[0,1] neg_hi:[0,1]
	v_pk_add_f16 v28, v28, v48 op_sel:[0,1] op_sel_hi:[1,0]
	v_pk_add_f16 v48, v25, v21 op_sel:[0,1] op_sel_hi:[1,0]
	v_pk_add_f16 v21, v25, v21 op_sel:[0,1] op_sel_hi:[1,0] neg_lo:[0,1] neg_hi:[0,1]
	v_alignbit_b32 v25, v27, v26, 16
	v_alignbit_b32 v26, v26, v27, 16
	v_bfi_b32 v50, 0xffff, v49, v28
	v_bfi_b32 v28, 0xffff, v28, v49
	;; [unrolled: 1-line block ×4, first 2 shown]
	ds_write2_b32 v23, v25, v50 offset0:2 offset1:3
	ds_write2_b32 v23, v28, v26 offset0:4 offset1:5
	ds_write2_b32 v23, v24, v27 offset1:1
	ds_write_b32 v23, v49 offset:24
	s_waitcnt lgkmcnt(0)
	s_barrier
	buffer_gl0_inv
	ds_read2_b32 v[23:24], v31 offset1:84
	ds_read2_b32 v[27:28], v47 offset0:68 offset1:152
	ds_read2_b32 v[25:26], v51 offset0:136 offset1:220
	v_lshrrev_b32_e32 v48, 16, v48
	s_and_saveexec_b32 s1, vcc_lo
	s_cbranch_execz .LBB0_11
; %bb.10:
	ds_read2_b32 v[21:22], v47 offset0:40 offset1:236
	ds_read_b32 v11, v31 offset:2240
	s_waitcnt lgkmcnt(1)
	v_lshrrev_b32_e32 v48, 16, v21
	v_lshrrev_b32_e32 v12, 16, v22
	s_waitcnt lgkmcnt(0)
	v_lshrrev_b32_e32 v41, 16, v11
.LBB0_11:
	s_or_b32 exec_lo, exec_lo, s1
	s_waitcnt lgkmcnt(1)
	v_lshrrev_b32_e32 v49, 16, v27
	s_waitcnt lgkmcnt(0)
	v_lshrrev_b32_e32 v51, 16, v25
	v_lshrrev_b32_e32 v52, 16, v28
	v_mul_f16_sdwa v54, v17, v27 dst_sel:DWORD dst_unused:UNUSED_PAD src0_sel:WORD_1 src1_sel:DWORD
	v_lshrrev_b32_e32 v55, 16, v26
	v_mul_f16_sdwa v53, v17, v49 dst_sel:DWORD dst_unused:UNUSED_PAD src0_sel:WORD_1 src1_sel:DWORD
	v_mul_f16_sdwa v56, v18, v51 dst_sel:DWORD dst_unused:UNUSED_PAD src0_sel:WORD_1 src1_sel:DWORD
	v_mul_f16_sdwa v57, v18, v25 dst_sel:DWORD dst_unused:UNUSED_PAD src0_sel:WORD_1 src1_sel:DWORD
	v_lshrrev_b32_e32 v50, 16, v23
	v_lshrrev_b32_e32 v47, 16, v24
	v_fmac_f16_e32 v53, v17, v27
	v_mul_f16_sdwa v27, v15, v52 dst_sel:DWORD dst_unused:UNUSED_PAD src0_sel:WORD_1 src1_sel:DWORD
	v_fma_f16 v17, v17, v49, -v54
	v_fmac_f16_e32 v56, v18, v25
	v_mul_f16_sdwa v25, v15, v28 dst_sel:DWORD dst_unused:UNUSED_PAD src0_sel:WORD_1 src1_sel:DWORD
	v_mul_f16_sdwa v49, v16, v55 dst_sel:DWORD dst_unused:UNUSED_PAD src0_sel:WORD_1 src1_sel:DWORD
	v_fmac_f16_e32 v27, v15, v28
	v_mul_f16_sdwa v28, v16, v26 dst_sel:DWORD dst_unused:UNUSED_PAD src0_sel:WORD_1 src1_sel:DWORD
	v_fma_f16 v18, v18, v51, -v57
	v_fma_f16 v15, v15, v52, -v25
	v_mul_f16_sdwa v25, v13, v12 dst_sel:DWORD dst_unused:UNUSED_PAD src0_sel:WORD_1 src1_sel:DWORD
	v_fmac_f16_e32 v49, v16, v26
	v_fma_f16 v16, v16, v55, -v28
	v_mul_f16_sdwa v28, v14, v41 dst_sel:DWORD dst_unused:UNUSED_PAD src0_sel:WORD_1 src1_sel:DWORD
	v_mul_f16_sdwa v26, v13, v22 dst_sel:DWORD dst_unused:UNUSED_PAD src0_sel:WORD_1 src1_sel:DWORD
	v_fmac_f16_e32 v25, v13, v22
	v_mul_f16_sdwa v22, v14, v11 dst_sel:DWORD dst_unused:UNUSED_PAD src0_sel:WORD_1 src1_sel:DWORD
	v_fmac_f16_e32 v28, v14, v11
	v_add_f16_e32 v11, v23, v53
	v_fma_f16 v12, v13, v12, -v26
	v_add_f16_e32 v13, v53, v56
	v_fma_f16 v22, v14, v41, -v22
	v_add_f16_e32 v14, v17, v18
	v_add_f16_e32 v41, v11, v56
	;; [unrolled: 1-line block ×3, first 2 shown]
	v_fma_f16 v26, -0.5, v13, v23
	v_sub_f16_e32 v13, v17, v18
	v_fmac_f16_e32 v50, -0.5, v14
	v_sub_f16_e32 v14, v53, v56
	v_add_f16_e32 v52, v11, v18
	v_add_f16_e32 v11, v27, v49
	v_fmamk_f16 v51, v13, 0xbaee, v26
	v_fmac_f16_e32 v26, 0x3aee, v13
	v_fmamk_f16 v53, v14, 0x3aee, v50
	v_add_f16_e32 v13, v24, v27
	v_fmac_f16_e32 v50, 0xbaee, v14
	v_add_f16_e32 v14, v15, v16
	v_fmac_f16_e32 v24, -0.5, v11
	v_sub_f16_e32 v11, v15, v16
	v_add_f16_e32 v54, v13, v49
	v_add_f16_e32 v13, v47, v15
	v_fmac_f16_e32 v47, -0.5, v14
	v_add_f16_e32 v14, v22, v12
	v_fmamk_f16 v23, v11, 0xbaee, v24
	v_fmac_f16_e32 v24, 0x3aee, v11
	v_add_f16_e32 v11, v28, v25
	v_sub_f16_e32 v15, v27, v49
	v_add_f16_e32 v16, v13, v16
	v_add_f16_e32 v18, v21, v25
	v_sub_f16_e32 v13, v12, v22
	v_fmac_f16_e32 v21, -0.5, v11
	v_add_f16_e32 v27, v12, v48
	v_fmac_f16_e32 v48, -0.5, v14
	v_sub_f16_e32 v14, v25, v28
	v_fmamk_f16 v17, v15, 0x3aee, v47
	v_fmac_f16_e32 v47, 0xbaee, v15
	v_add_f16_e32 v11, v28, v18
	v_fmamk_f16 v12, v13, 0xbaee, v21
	v_add_f16_e32 v18, v22, v27
	v_fmamk_f16 v22, v14, 0x3aee, v48
	v_pack_b32_f16 v15, v41, v52
	v_pack_b32_f16 v25, v51, v53
	;; [unrolled: 1-line block ×6, first 2 shown]
	s_barrier
	buffer_gl0_inv
	ds_write2_b32 v44, v15, v25 offset1:7
	ds_write_b32 v44, v26 offset:56
	ds_write2_b32 v45, v16, v27 offset1:7
	ds_write_b32 v45, v28 offset:56
	s_and_saveexec_b32 s1, vcc_lo
	s_cbranch_execz .LBB0_13
; %bb.12:
	v_mov_b32_e32 v15, 21
	v_mul_f16_e32 v14, 0x3aee, v14
	v_mul_f16_e32 v13, 0x3aee, v13
	v_perm_b32 v16, v18, v11, 0x5040100
	v_mul_u32_u24_sdwa v15, v39, v15 dst_sel:DWORD dst_unused:UNUSED_PAD src0_sel:WORD_0 src1_sel:DWORD
	v_sub_f16_e32 v14, v48, v14
	v_add_f16_e32 v13, v13, v21
	v_perm_b32 v21, v22, v12, 0x5040100
	v_add_nc_u32_sdwa v15, v15, v40 dst_sel:DWORD dst_unused:UNUSED_PAD src0_sel:DWORD src1_sel:BYTE_0
	v_pack_b32_f16 v13, v13, v14
	v_lshl_add_u32 v15, v15, 2, v38
	ds_write2_b32 v15, v16, v21 offset1:7
	ds_write_b32 v15, v13 offset:56
.LBB0_13:
	s_or_b32 exec_lo, exec_lo, s1
	v_add_nc_u32_e32 v15, 0x400, v31
	s_waitcnt lgkmcnt(0)
	s_barrier
	buffer_gl0_inv
	ds_read2_b32 v[13:14], v31 offset1:147
	ds_read2_b32 v[15:16], v15 offset0:38 offset1:185
	s_and_saveexec_b32 s1, s0
	s_cbranch_execz .LBB0_15
; %bb.14:
	v_add_nc_u32_e32 v11, 0x500, v31
	ds_read2_b32 v[23:24], v31 offset0:84 offset1:231
	ds_read2_b32 v[11:12], v11 offset0:58 offset1:205
	s_waitcnt lgkmcnt(1)
	v_lshrrev_b32_e32 v17, 16, v23
	v_lshrrev_b32_e32 v47, 16, v24
	s_waitcnt lgkmcnt(0)
	v_lshrrev_b32_e32 v18, 16, v11
	v_lshrrev_b32_e32 v22, 16, v12
.LBB0_15:
	s_or_b32 exec_lo, exec_lo, s1
	s_waitcnt lgkmcnt(1)
	v_lshrrev_b32_e32 v21, 16, v14
	s_waitcnt lgkmcnt(0)
	v_lshrrev_b32_e32 v26, 16, v15
	v_mul_f16_sdwa v27, v7, v14 dst_sel:DWORD dst_unused:UNUSED_PAD src0_sel:WORD_1 src1_sel:DWORD
	v_lshrrev_b32_e32 v28, 16, v16
	v_mul_f16_sdwa v40, v8, v15 dst_sel:DWORD dst_unused:UNUSED_PAD src0_sel:WORD_1 src1_sel:DWORD
	v_mul_f16_sdwa v39, v7, v21 dst_sel:DWORD dst_unused:UNUSED_PAD src0_sel:WORD_1 src1_sel:DWORD
	;; [unrolled: 1-line block ×3, first 2 shown]
	v_fma_f16 v21, v7, v21, -v27
	v_mul_f16_sdwa v27, v8, v26 dst_sel:DWORD dst_unused:UNUSED_PAD src0_sel:WORD_1 src1_sel:DWORD
	v_mul_f16_sdwa v44, v9, v28 dst_sel:DWORD dst_unused:UNUSED_PAD src0_sel:WORD_1 src1_sel:DWORD
	v_lshrrev_b32_e32 v25, 16, v13
	v_fma_f16 v26, v8, v26, -v40
	v_fma_f16 v28, v9, v28, -v41
	v_fmac_f16_e32 v39, v7, v14
	v_fmac_f16_e32 v27, v8, v15
	;; [unrolled: 1-line block ×3, first 2 shown]
	v_sub_f16_e32 v7, v25, v26
	v_sub_f16_e32 v8, v21, v28
	v_sub_f16_e32 v9, v13, v27
	v_sub_f16_e32 v14, v39, v44
	v_fma_f16 v15, v25, 2.0, -v7
	v_fma_f16 v16, v21, 2.0, -v8
	s_barrier
	v_fma_f16 v13, v13, 2.0, -v9
	v_fma_f16 v21, v39, 2.0, -v14
	v_add_f16_e32 v8, v9, v8
	v_sub_f16_e32 v16, v15, v16
	v_sub_f16_e32 v14, v7, v14
	buffer_gl0_inv
	v_sub_f16_e32 v21, v13, v21
	v_fma_f16 v9, v9, 2.0, -v8
	v_fma_f16 v15, v15, 2.0, -v16
	;; [unrolled: 1-line block ×3, first 2 shown]
	v_pack_b32_f16 v8, v8, v14
	v_fma_f16 v13, v13, 2.0, -v21
	v_pack_b32_f16 v7, v9, v7
	v_pack_b32_f16 v9, v13, v15
	;; [unrolled: 1-line block ×3, first 2 shown]
	ds_write2_b32 v46, v9, v7 offset1:21
	ds_write2_b32 v46, v13, v8 offset0:42 offset1:63
	s_and_saveexec_b32 s1, s0
	s_cbranch_execz .LBB0_17
; %bb.16:
	v_mul_f16_sdwa v7, v5, v18 dst_sel:DWORD dst_unused:UNUSED_PAD src0_sel:WORD_1 src1_sel:DWORD
	v_mul_f16_sdwa v8, v4, v24 dst_sel:DWORD dst_unused:UNUSED_PAD src0_sel:WORD_1 src1_sel:DWORD
	;; [unrolled: 1-line block ×5, first 2 shown]
	v_fmac_f16_e32 v7, v5, v11
	v_mul_f16_sdwa v11, v6, v12 dst_sel:DWORD dst_unused:UNUSED_PAD src0_sel:WORD_1 src1_sel:DWORD
	v_fmac_f16_e32 v9, v4, v24
	v_fmac_f16_e32 v13, v6, v12
	v_fma_f16 v5, v5, v18, -v14
	v_fma_f16 v4, v4, v47, -v8
	;; [unrolled: 1-line block ×3, first 2 shown]
	v_sub_f16_e32 v7, v23, v7
	v_sub_f16_e32 v8, v9, v13
	v_sub_f16_e32 v5, v17, v5
	v_mov_b32_e32 v13, 0x54
	v_sub_f16_e32 v6, v4, v6
	v_fma_f16 v11, v23, 2.0, -v7
	v_fma_f16 v9, v9, 2.0, -v8
	;; [unrolled: 1-line block ×3, first 2 shown]
	v_mul_u32_u24_sdwa v13, v42, v13 dst_sel:DWORD dst_unused:UNUSED_PAD src0_sel:WORD_0 src1_sel:DWORD
	v_fma_f16 v4, v4, 2.0, -v6
	v_add_f16_e32 v6, v7, v6
	v_sub_f16_e32 v9, v11, v9
	v_sub_f16_e32 v8, v5, v8
	v_add_nc_u32_e32 v13, v13, v43
	v_sub_f16_e32 v4, v12, v4
	v_fma_f16 v7, v7, 2.0, -v6
	v_fma_f16 v11, v11, 2.0, -v9
	;; [unrolled: 1-line block ×3, first 2 shown]
	v_lshl_add_u32 v13, v13, 2, v38
	v_fma_f16 v12, v12, 2.0, -v4
	v_pack_b32_f16 v4, v9, v4
	v_pack_b32_f16 v6, v6, v8
	;; [unrolled: 1-line block ×4, first 2 shown]
	ds_write2_b32 v13, v11, v5 offset1:21
	ds_write2_b32 v13, v4, v6 offset0:42 offset1:63
.LBB0_17:
	s_or_b32 exec_lo, exec_lo, s1
	s_waitcnt lgkmcnt(0)
	s_barrier
	buffer_gl0_inv
	ds_read2_b32 v[5:6], v31 offset1:84
	ds_read2_b32 v[7:8], v31 offset0:168 offset1:252
	v_add_nc_u32_e32 v4, 0x400, v31
	ds_read_b32 v9, v31 offset:2016
	ds_read2_b32 v[11:12], v4 offset0:80 offset1:164
	s_mov_b32 s6, 0x899406f7
	s_mov_b32 s7, 0x3f5bdd2b
	s_mul_i32 s3, s8, 0x150
	s_waitcnt lgkmcnt(3)
	v_lshrrev_b32_e32 v13, 16, v6
	s_waitcnt lgkmcnt(2)
	v_lshrrev_b32_e32 v14, 16, v7
	v_mul_f16_sdwa v17, v0, v6 dst_sel:DWORD dst_unused:UNUSED_PAD src0_sel:WORD_1 src1_sel:DWORD
	v_lshrrev_b32_e32 v15, 16, v8
	v_mul_f16_sdwa v18, v1, v7 dst_sel:DWORD dst_unused:UNUSED_PAD src0_sel:WORD_1 src1_sel:DWORD
	s_waitcnt lgkmcnt(1)
	v_lshrrev_b32_e32 v16, 16, v9
	v_mul_f16_sdwa v21, v2, v8 dst_sel:DWORD dst_unused:UNUSED_PAD src0_sel:WORD_1 src1_sel:DWORD
	s_waitcnt lgkmcnt(0)
	v_lshrrev_b32_e32 v23, 16, v11
	v_lshrrev_b32_e32 v24, 16, v12
	v_mul_f16_sdwa v25, v0, v13 dst_sel:DWORD dst_unused:UNUSED_PAD src0_sel:WORD_1 src1_sel:DWORD
	v_fma_f16 v13, v0, v13, -v17
	v_mul_f16_sdwa v17, v1, v14 dst_sel:DWORD dst_unused:UNUSED_PAD src0_sel:WORD_1 src1_sel:DWORD
	v_mul_f16_sdwa v22, v20, v9 dst_sel:DWORD dst_unused:UNUSED_PAD src0_sel:WORD_1 src1_sel:DWORD
	v_fma_f16 v14, v1, v14, -v18
	v_mul_f16_sdwa v18, v2, v15 dst_sel:DWORD dst_unused:UNUSED_PAD src0_sel:WORD_1 src1_sel:DWORD
	v_fma_f16 v15, v2, v15, -v21
	v_mul_f16_sdwa v21, v3, v11 dst_sel:DWORD dst_unused:UNUSED_PAD src0_sel:WORD_1 src1_sel:DWORD
	v_mul_f16_sdwa v26, v19, v12 dst_sel:DWORD dst_unused:UNUSED_PAD src0_sel:WORD_1 src1_sel:DWORD
	;; [unrolled: 1-line block ×3, first 2 shown]
	v_fmac_f16_e32 v25, v0, v6
	v_fmac_f16_e32 v17, v1, v7
	v_mul_f16_sdwa v0, v3, v23 dst_sel:DWORD dst_unused:UNUSED_PAD src0_sel:WORD_1 src1_sel:DWORD
	v_mul_f16_sdwa v1, v19, v24 dst_sel:DWORD dst_unused:UNUSED_PAD src0_sel:WORD_1 src1_sel:DWORD
	v_fma_f16 v16, v20, v16, -v22
	v_fmac_f16_e32 v18, v2, v8
	v_fmac_f16_e32 v27, v20, v9
	v_fma_f16 v2, v3, v23, -v21
	v_fmac_f16_e32 v0, v3, v11
	v_fmac_f16_e32 v1, v19, v12
	v_fma_f16 v3, v19, v24, -v26
	v_add_f16_e32 v6, v25, v27
	v_add_f16_e32 v7, v13, v16
	v_sub_f16_e32 v9, v13, v16
	v_add_f16_e32 v11, v17, v1
	v_add_f16_e32 v12, v14, v3
	v_sub_f16_e32 v1, v17, v1
	v_sub_f16_e32 v3, v14, v3
	v_add_f16_e32 v13, v18, v0
	v_add_f16_e32 v14, v15, v2
	v_sub_f16_e32 v0, v0, v18
	;; [unrolled: 4-line block ×3, first 2 shown]
	v_sub_f16_e32 v17, v11, v6
	v_sub_f16_e32 v18, v12, v7
	;; [unrolled: 1-line block ×6, first 2 shown]
	v_add_f16_e32 v19, v0, v1
	v_add_f16_e32 v20, v2, v3
	v_sub_f16_e32 v21, v0, v1
	v_sub_f16_e32 v22, v2, v3
	v_add_f16_e32 v13, v13, v15
	v_add_f16_e32 v14, v14, v16
	v_sub_f16_e32 v1, v1, v8
	v_sub_f16_e32 v3, v3, v9
	v_sub_f16_e32 v0, v8, v0
	v_sub_f16_e32 v2, v9, v2
	v_add_f16_e32 v8, v19, v8
	v_add_f16_e32 v9, v20, v9
	;; [unrolled: 1-line block ×3, first 2 shown]
	v_add_f16_sdwa v5, v5, v14 dst_sel:DWORD dst_unused:UNUSED_PAD src0_sel:WORD_1 src1_sel:DWORD
	v_mul_f16_e32 v6, 0x3a52, v6
	v_mul_f16_e32 v7, 0x3a52, v7
	;; [unrolled: 1-line block ×8, first 2 shown]
	v_fmamk_f16 v13, v13, 0xbcab, v15
	v_fmamk_f16 v14, v14, 0xbcab, v5
	;; [unrolled: 1-line block ×4, first 2 shown]
	v_fma_f16 v16, v17, 0x39e0, -v16
	v_fma_f16 v19, v18, 0x39e0, -v19
	;; [unrolled: 1-line block ×4, first 2 shown]
	v_fmamk_f16 v17, v0, 0xb574, v20
	v_fmamk_f16 v18, v2, 0xb574, v21
	v_fma_f16 v1, v1, 0xbb00, -v20
	v_fma_f16 v3, v3, 0xbb00, -v21
	;; [unrolled: 1-line block ×4, first 2 shown]
	v_add_f16_e32 v11, v11, v13
	v_add_f16_e32 v12, v12, v14
	v_fmac_f16_e32 v17, 0xb70e, v8
	v_fmac_f16_e32 v18, 0xb70e, v9
	v_add_f16_e32 v16, v16, v13
	v_add_f16_e32 v19, v19, v14
	v_add_f16_e32 v6, v6, v13
	v_add_f16_e32 v7, v7, v14
	v_fmac_f16_e32 v1, 0xb70e, v8
	v_fmac_f16_e32 v2, 0xb70e, v9
	;; [unrolled: 1-line block ×4, first 2 shown]
	v_add_f16_e32 v8, v18, v11
	v_sub_f16_e32 v9, v12, v17
	v_add_f16_e32 v13, v2, v6
	v_sub_f16_e32 v14, v7, v0
	v_sub_f16_e32 v20, v16, v3
	v_add_f16_e32 v21, v1, v19
	v_add_f16_e32 v3, v3, v16
	v_sub_f16_e32 v1, v19, v1
	v_sub_f16_e32 v2, v6, v2
	v_add_f16_e32 v0, v0, v7
	v_sub_f16_e32 v6, v11, v18
	v_add_f16_e32 v7, v17, v12
	v_pack_b32_f16 v5, v15, v5
	v_pack_b32_f16 v8, v8, v9
	;; [unrolled: 1-line block ×7, first 2 shown]
	ds_write2_b32 v31, v5, v8 offset1:84
	ds_write2_b32 v31, v9, v11 offset0:168 offset1:252
	ds_write2_b32 v4, v1, v0 offset0:80 offset1:164
	ds_write_b32 v31, v2 offset:2016
	s_waitcnt lgkmcnt(0)
	s_barrier
	buffer_gl0_inv
	ds_read2_b32 v[0:1], v31 offset1:84
	s_waitcnt lgkmcnt(0)
	v_lshrrev_b32_e32 v2, 16, v0
	v_mul_f16_sdwa v5, v37, v0 dst_sel:DWORD dst_unused:UNUSED_PAD src0_sel:WORD_1 src1_sel:DWORD
	v_mul_f16_sdwa v3, v37, v2 dst_sel:DWORD dst_unused:UNUSED_PAD src0_sel:WORD_1 src1_sel:DWORD
	v_fmac_f16_e32 v3, v37, v0
	v_fma_f16 v0, v37, v2, -v5
	v_cvt_f32_f16_e32 v2, v3
	v_cvt_f32_f16_e32 v0, v0
	v_cvt_f64_f32_e32 v[2:3], v2
	v_cvt_f64_f32_e32 v[5:6], v0
	v_lshrrev_b32_e32 v0, 16, v1
	v_mul_f16_sdwa v7, v36, v0 dst_sel:DWORD dst_unused:UNUSED_PAD src0_sel:WORD_1 src1_sel:DWORD
	v_fmac_f16_e32 v7, v36, v1
	v_mul_f16_sdwa v1, v36, v1 dst_sel:DWORD dst_unused:UNUSED_PAD src0_sel:WORD_1 src1_sel:DWORD
	v_cvt_f32_f16_e32 v7, v7
	v_fma_f16 v0, v36, v0, -v1
	v_mul_f64 v[2:3], v[2:3], s[6:7]
	v_mul_f64 v[5:6], v[5:6], s[6:7]
	v_cvt_f32_f16_e32 v9, v0
	v_cvt_f64_f32_e32 v[7:8], v7
	v_mad_u64_u32 v[0:1], null, s10, v10, 0
	v_cvt_f64_f32_e32 v[11:12], v9
	v_and_or_b32 v2, 0x1ff, v3, v2
	v_and_or_b32 v5, 0x1ff, v6, v5
	v_lshrrev_b32_e32 v14, 8, v3
	v_bfe_u32 v15, v3, 20, 11
	v_bfe_u32 v13, v6, 20, 11
	v_cmp_ne_u32_e32 vcc_lo, 0, v2
	v_lshrrev_b32_e32 v9, 8, v6
	v_lshrrev_b32_e32 v21, 16, v3
	v_sub_nc_u32_e32 v16, 0x3f1, v15
	v_mul_f64 v[7:8], v[7:8], s[6:7]
	v_cndmask_b32_e64 v2, 0, 1, vcc_lo
	v_cmp_ne_u32_e32 vcc_lo, 0, v5
	v_add_nc_u32_e32 v15, 0xfffffc10, v15
	v_med3_i32 v16, v16, 0, 13
	v_mul_f64 v[11:12], v[11:12], s[6:7]
	v_and_or_b32 v14, 0xffe, v14, v2
	v_cndmask_b32_e64 v5, 0, 1, vcc_lo
	v_sub_nc_u32_e32 v2, 0x3f1, v13
	v_add_nc_u32_e32 v13, 0xfffffc10, v13
	v_lshrrev_b32_e32 v6, 16, v6
	v_or_b32_e32 v17, 0x1000, v14
	v_and_or_b32 v5, 0xffe, v9, v5
	v_med3_i32 v18, v2, 0, 13
	v_mad_u64_u32 v[1:2], null, s11, v10, v[1:2]
	v_lshrrev_b32_e32 v2, v16, v17
	v_or_b32_e32 v19, 0x1000, v5
	ds_read2_b32 v[9:10], v31 offset0:168 offset1:252
	v_lshlrev_b32_e32 v3, v16, v2
	v_lshrrev_b32_e32 v20, v18, v19
	v_and_or_b32 v7, 0x1ff, v8, v7
	v_lshlrev_b64 v[0:1], 2, v[0:1]
	v_cmp_ne_u32_e32 vcc_lo, v3, v17
	v_lshlrev_b32_e32 v16, v18, v20
	v_lshl_or_b32 v18, v15, 12, v14
	v_lshrrev_b32_e32 v17, 8, v8
	v_cndmask_b32_e64 v3, 0, 1, vcc_lo
	v_cmp_ne_u32_e32 vcc_lo, v16, v19
	v_bfe_u32 v19, v8, 20, 11
	v_lshrrev_b32_e32 v8, 16, v8
	v_or_b32_e32 v2, v2, v3
	v_cndmask_b32_e64 v16, 0, 1, vcc_lo
	v_cmp_gt_i32_e32 vcc_lo, 1, v15
	v_lshl_or_b32 v3, v13, 12, v5
	v_or_b32_e32 v16, v20, v16
	v_cndmask_b32_e32 v2, v18, v2, vcc_lo
	v_cmp_gt_i32_e32 vcc_lo, 1, v13
	v_cndmask_b32_e32 v3, v3, v16, vcc_lo
	v_cmp_ne_u32_e32 vcc_lo, 0, v14
	v_and_b32_e32 v16, 7, v2
	v_lshrrev_b32_e32 v2, 2, v2
	v_and_b32_e32 v18, 7, v3
	v_cndmask_b32_e64 v14, 0, 1, vcc_lo
	v_cmp_ne_u32_e32 vcc_lo, 0, v7
	v_cmp_eq_u32_e64 s0, 3, v16
	v_lshrrev_b32_e32 v3, 2, v3
	v_cmp_lt_i32_e64 s1, 5, v18
	v_cmp_eq_u32_e64 s2, 3, v18
	v_cndmask_b32_e64 v7, 0, 1, vcc_lo
	v_cmp_lt_i32_e32 vcc_lo, 5, v16
	v_lshl_or_b32 v14, v14, 9, 0x7c00
	s_waitcnt lgkmcnt(0)
	v_lshrrev_b32_e32 v18, 16, v9
	s_or_b32 vcc_lo, s0, vcc_lo
	v_add_co_ci_u32_e32 v2, vcc_lo, 0, v2, vcc_lo
	s_or_b32 vcc_lo, s2, s1
	s_mul_hi_u32 s2, s8, 0x150
	v_add_co_ci_u32_e32 v3, vcc_lo, 0, v3, vcc_lo
	v_cmp_gt_i32_e32 vcc_lo, 31, v15
	v_cndmask_b32_e32 v2, 0x7c00, v2, vcc_lo
	v_cmp_ne_u32_e32 vcc_lo, 0, v5
	v_cndmask_b32_e64 v5, 0, 1, vcc_lo
	v_cmp_gt_i32_e32 vcc_lo, 31, v13
	v_lshl_or_b32 v5, v5, 9, 0x7c00
	v_cndmask_b32_e32 v16, 0x7c00, v3, vcc_lo
	v_cmp_eq_u32_e32 vcc_lo, 0x40f, v15
	v_and_or_b32 v15, 0xffe, v17, v7
	v_sub_nc_u32_e32 v7, 0x3f1, v19
	v_cndmask_b32_e32 v14, v2, v14, vcc_lo
	v_or_b32_e32 v17, 0x1000, v15
	v_med3_i32 v7, v7, 0, 13
	v_cmp_eq_u32_e32 vcc_lo, 0x40f, v13
	v_mad_u64_u32 v[2:3], null, s8, v35, 0
	v_and_or_b32 v14, 0x8000, v21, v14
	v_lshrrev_b32_e32 v13, v7, v17
	v_cndmask_b32_e32 v5, v16, v5, vcc_lo
	v_and_b32_e32 v14, 0xffff, v14
	v_lshlrev_b32_e32 v7, v7, v13
	v_and_or_b32 v16, 0x8000, v6, v5
	v_mad_u64_u32 v[5:6], null, s9, v35, v[3:4]
	v_and_or_b32 v6, 0x1ff, v12, v11
	v_cmp_ne_u32_e32 vcc_lo, v7, v17
	v_mul_f16_sdwa v3, v34, v18 dst_sel:DWORD dst_unused:UNUSED_PAD src0_sel:WORD_1 src1_sel:DWORD
	v_add_nc_u32_e32 v11, 0xfffffc10, v19
	v_lshrrev_b32_e32 v17, 8, v12
	v_bfe_u32 v19, v12, 20, 11
	v_cndmask_b32_e64 v7, 0, 1, vcc_lo
	v_cmp_ne_u32_e32 vcc_lo, 0, v6
	v_fmac_f16_e32 v3, v34, v9
	v_lshl_or_b32 v20, v11, 12, v15
	v_sub_nc_u32_e32 v21, 0x3f1, v19
	v_or_b32_e32 v13, v13, v7
	v_cndmask_b32_e64 v6, 0, 1, vcc_lo
	v_cvt_f32_f16_e32 v3, v3
	v_cmp_gt_i32_e32 vcc_lo, 1, v11
	v_med3_i32 v21, v21, 0, 13
	v_lshl_or_b32 v14, v16, 16, v14
	v_and_or_b32 v17, 0xffe, v17, v6
	v_cvt_f64_f32_e32 v[6:7], v3
	v_cndmask_b32_e32 v13, v20, v13, vcc_lo
	v_mov_b32_e32 v3, v5
	v_add_co_u32 v22, vcc_lo, s4, v0
	v_or_b32_e32 v20, 0x1000, v17
	v_and_b32_e32 v5, 7, v13
	v_add_co_ci_u32_e32 v23, vcc_lo, s5, v1, vcc_lo
	v_lshlrev_b64 v[0:1], 2, v[2:3]
	v_lshrrev_b32_e32 v16, v21, v20
	v_cmp_lt_i32_e32 vcc_lo, 5, v5
	v_cmp_eq_u32_e64 s0, 3, v5
	v_lshrrev_b32_e32 v5, 2, v13
	v_add_nc_u32_e32 v19, 0xfffffc10, v19
	v_lshlrev_b32_e32 v21, v21, v16
	v_lshrrev_b32_e32 v12, 16, v12
	s_or_b32 vcc_lo, s0, vcc_lo
	v_add_co_ci_u32_e32 v5, vcc_lo, 0, v5, vcc_lo
	v_cmp_ne_u32_e64 s1, v21, v20
	v_mul_f64 v[2:3], v[6:7], s[6:7]
	v_mul_f16_sdwa v6, v34, v9 dst_sel:DWORD dst_unused:UNUSED_PAD src0_sel:WORD_1 src1_sel:DWORD
	v_cmp_ne_u32_e32 vcc_lo, 0, v15
	v_lshl_or_b32 v9, v19, 12, v17
	v_cndmask_b32_e64 v13, 0, 1, s1
	v_fma_f16 v6, v34, v18, -v6
	v_or_b32_e32 v7, v16, v13
	v_cndmask_b32_e64 v13, 0, 1, vcc_lo
	v_cmp_gt_i32_e32 vcc_lo, 1, v19
	v_cvt_f32_f16_e32 v6, v6
	v_lshl_or_b32 v13, v13, 9, 0x7c00
	v_cndmask_b32_e32 v7, v9, v7, vcc_lo
	v_cmp_gt_i32_e32 vcc_lo, 31, v11
	v_and_b32_e32 v15, 7, v7
	v_cndmask_b32_e32 v9, 0x7c00, v5, vcc_lo
	v_cvt_f64_f32_e32 v[5:6], v6
	v_add_co_u32 v0, vcc_lo, v22, v0
	v_add_co_ci_u32_e32 v1, vcc_lo, v23, v1, vcc_lo
	v_cmp_eq_u32_e32 vcc_lo, 0x40f, v11
	v_and_or_b32 v2, 0x1ff, v3, v2
	v_cmp_eq_u32_e64 s0, 3, v15
	v_lshrrev_b32_e32 v7, 2, v7
	v_lshrrev_b32_e32 v11, 8, v3
	v_cndmask_b32_e32 v9, v9, v13, vcc_lo
	v_cmp_lt_i32_e32 vcc_lo, 5, v15
	v_cmp_ne_u32_e64 s1, 0, v2
	v_bfe_u32 v13, v3, 20, 11
	v_lshrrev_b32_e32 v15, 16, v10
	v_and_or_b32 v8, 0x8000, v8, v9
	s_or_b32 vcc_lo, s0, vcc_lo
	v_cndmask_b32_e64 v2, 0, 1, s1
	v_add_co_ci_u32_e32 v7, vcc_lo, 0, v7, vcc_lo
	v_cmp_ne_u32_e32 vcc_lo, 0, v17
	v_mul_f16_sdwa v18, v33, v15 dst_sel:DWORD dst_unused:UNUSED_PAD src0_sel:WORD_1 src1_sel:DWORD
	v_mul_f64 v[5:6], v[5:6], s[6:7]
	v_and_or_b32 v2, 0xffe, v11, v2
	v_sub_nc_u32_e32 v11, 0x3f1, v13
	v_cndmask_b32_e64 v16, 0, 1, vcc_lo
	v_cmp_gt_i32_e32 vcc_lo, 31, v19
	v_fmac_f16_e32 v18, v33, v10
	v_or_b32_e32 v17, 0x1000, v2
	v_med3_i32 v11, v11, 0, 13
	v_lshl_or_b32 v16, v16, 9, 0x7c00
	v_cndmask_b32_e32 v7, 0x7c00, v7, vcc_lo
	v_cmp_eq_u32_e32 vcc_lo, 0x40f, v19
	v_cvt_f32_f16_e32 v9, v18
	v_lshrrev_b32_e32 v20, v11, v17
	global_store_dword v[0:1], v14, off
	v_and_b32_e32 v14, 0xffff, v8
	v_cndmask_b32_e32 v7, v7, v16, vcc_lo
	s_mul_i32 s0, s9, 0x150
	v_lshlrev_b32_e32 v11, v11, v20
	s_add_i32 s2, s2, s0
	v_mul_f16_sdwa v10, v33, v10 dst_sel:DWORD dst_unused:UNUSED_PAD src0_sel:WORD_1 src1_sel:DWORD
	v_and_or_b32 v12, 0x8000, v12, v7
	v_cvt_f64_f32_e32 v[7:8], v9
	v_cmp_ne_u32_e32 vcc_lo, v11, v17
	v_and_or_b32 v5, 0x1ff, v6, v5
	v_add_nc_u32_e32 v11, 0xfffffc10, v13
	v_lshl_or_b32 v12, v12, 16, v14
	v_lshrrev_b32_e32 v14, 8, v6
	v_cndmask_b32_e64 v9, 0, 1, vcc_lo
	v_cmp_ne_u32_e32 vcc_lo, 0, v5
	v_lshl_or_b32 v13, v11, 12, v2
	v_bfe_u32 v16, v6, 20, 11
	v_fma_f16 v10, v33, v15, -v10
	v_or_b32_e32 v9, v20, v9
	v_cndmask_b32_e64 v5, 0, 1, vcc_lo
	v_cmp_gt_i32_e32 vcc_lo, 1, v11
	v_lshrrev_b32_e32 v6, 16, v6
	v_cvt_f32_f16_e32 v10, v10
	v_cndmask_b32_e32 v9, v13, v9, vcc_lo
	v_and_or_b32 v13, 0xffe, v14, v5
	v_sub_nc_u32_e32 v5, 0x3f1, v16
	v_add_co_u32 v0, vcc_lo, v0, s3
	v_mul_f64 v[7:8], v[7:8], s[6:7]
	v_or_b32_e32 v17, 0x1000, v13
	v_med3_i32 v5, v5, 0, 13
	v_and_b32_e32 v14, 7, v9
	v_add_co_ci_u32_e32 v1, vcc_lo, s2, v1, vcc_lo
	v_lshrrev_b32_e32 v9, 2, v9
	v_lshrrev_b32_e32 v18, v5, v17
	v_cmp_lt_i32_e32 vcc_lo, 5, v14
	v_cmp_eq_u32_e64 s0, 3, v14
	global_store_dword v[0:1], v12, off
	v_add_nc_u32_e32 v14, 0xfffffc10, v16
	v_lshlrev_b32_e32 v12, v5, v18
	ds_read2_b32 v[4:5], v4 offset0:80 offset1:164
	s_or_b32 vcc_lo, s0, vcc_lo
	v_add_co_ci_u32_e32 v9, vcc_lo, 0, v9, vcc_lo
	v_cmp_ne_u32_e32 vcc_lo, v12, v17
	v_lshl_or_b32 v16, v14, 12, v13
	v_and_or_b32 v7, 0x1ff, v8, v7
	v_cndmask_b32_e64 v12, 0, 1, vcc_lo
	v_cmp_gt_i32_e32 vcc_lo, 31, v11
	v_lshrrev_b32_e32 v17, 8, v8
	v_or_b32_e32 v12, v18, v12
	v_cndmask_b32_e32 v15, 0x7c00, v9, vcc_lo
	v_cmp_ne_u32_e32 vcc_lo, 0, v7
	v_cvt_f64_f32_e32 v[9:10], v10
	v_bfe_u32 v18, v8, 20, 11
	v_lshrrev_b32_e32 v8, 16, v8
	v_cndmask_b32_e64 v7, 0, 1, vcc_lo
	v_cmp_ne_u32_e32 vcc_lo, 0, v2
	v_cndmask_b32_e64 v2, 0, 1, vcc_lo
	v_cmp_gt_i32_e32 vcc_lo, 1, v14
	v_lshl_or_b32 v2, v2, 9, 0x7c00
	v_cndmask_b32_e32 v12, v16, v12, vcc_lo
	v_and_or_b32 v16, 0xffe, v17, v7
	v_sub_nc_u32_e32 v7, 0x3f1, v18
	v_cmp_eq_u32_e32 vcc_lo, 0x40f, v11
	s_waitcnt lgkmcnt(0)
	v_lshrrev_b32_e32 v17, 16, v4
	v_and_b32_e32 v19, 7, v12
	v_or_b32_e32 v20, 0x1000, v16
	v_med3_i32 v7, v7, 0, 13
	v_cndmask_b32_e32 v11, v15, v2, vcc_lo
	v_lshrrev_b32_e32 v2, 2, v12
	v_cmp_lt_i32_e32 vcc_lo, 5, v19
	v_cmp_eq_u32_e64 s0, 3, v19
	v_lshrrev_b32_e32 v15, v7, v20
	v_mul_f16_sdwa v21, v32, v17 dst_sel:DWORD dst_unused:UNUSED_PAD src0_sel:WORD_1 src1_sel:DWORD
	v_mul_f64 v[9:10], v[9:10], s[6:7]
	v_lshrrev_b32_e32 v19, 16, v3
	s_or_b32 vcc_lo, s0, vcc_lo
	v_lshlrev_b32_e32 v7, v7, v15
	v_add_co_ci_u32_e32 v12, vcc_lo, 0, v2, vcc_lo
	v_cmp_ne_u32_e32 vcc_lo, 0, v13
	v_fmac_f16_e32 v21, v32, v4
	v_add_nc_u32_e32 v18, 0xfffffc10, v18
	v_and_or_b32 v11, 0x8000, v19, v11
	v_mul_f16_sdwa v4, v32, v4 dst_sel:DWORD dst_unused:UNUSED_PAD src0_sel:WORD_1 src1_sel:DWORD
	v_cndmask_b32_e64 v13, 0, 1, vcc_lo
	v_cmp_ne_u32_e32 vcc_lo, v7, v20
	v_cvt_f32_f16_e32 v3, v21
	v_and_b32_e32 v11, 0xffff, v11
	v_fma_f16 v4, v32, v17, -v4
	v_lshl_or_b32 v13, v13, 9, 0x7c00
	v_cndmask_b32_e64 v7, 0, 1, vcc_lo
	v_cmp_gt_i32_e32 vcc_lo, 31, v14
	v_cvt_f64_f32_e32 v[2:3], v3
	v_cvt_f32_f16_e32 v4, v4
	v_lshrrev_b32_e32 v19, 16, v5
	v_or_b32_e32 v7, v15, v7
	v_cndmask_b32_e32 v12, 0x7c00, v12, vcc_lo
	v_cmp_eq_u32_e32 vcc_lo, 0x40f, v14
	v_lshl_or_b32 v15, v18, 12, v16
	v_and_or_b32 v9, 0x1ff, v10, v9
	v_bfe_u32 v14, v10, 20, 11
	v_mul_f16_sdwa v20, v30, v19 dst_sel:DWORD dst_unused:UNUSED_PAD src0_sel:WORD_1 src1_sel:DWORD
	v_cndmask_b32_e32 v12, v12, v13, vcc_lo
	v_cmp_gt_i32_e32 vcc_lo, 1, v18
	v_lshrrev_b32_e32 v13, 8, v10
	v_lshrrev_b32_e32 v10, 16, v10
	v_fmac_f16_e32 v20, v30, v5
	v_and_or_b32 v6, 0x8000, v6, v12
	v_cndmask_b32_e32 v7, v15, v7, vcc_lo
	v_cmp_ne_u32_e32 vcc_lo, 0, v9
	v_mul_f16_sdwa v5, v30, v5 dst_sel:DWORD dst_unused:UNUSED_PAD src0_sel:WORD_1 src1_sel:DWORD
	v_lshl_or_b32 v17, v6, 16, v11
	v_and_b32_e32 v15, 7, v7
	v_cndmask_b32_e64 v9, 0, 1, vcc_lo
	v_mul_f64 v[2:3], v[2:3], s[6:7]
	v_lshrrev_b32_e32 v7, 2, v7
	v_fma_f16 v5, v30, v19, -v5
	v_cmp_lt_i32_e32 vcc_lo, 5, v15
	v_and_or_b32 v13, 0xffe, v13, v9
	v_sub_nc_u32_e32 v9, 0x3f1, v14
	v_cmp_eq_u32_e64 s0, 3, v15
	v_or_b32_e32 v12, 0x1000, v13
	v_med3_i32 v9, v9, 0, 13
	s_or_b32 vcc_lo, s0, vcc_lo
	v_add_co_ci_u32_e32 v7, vcc_lo, 0, v7, vcc_lo
	v_lshrrev_b32_e32 v15, v9, v12
	v_cmp_gt_i32_e32 vcc_lo, 31, v18
	v_lshlrev_b32_e32 v6, v9, v15
	v_cndmask_b32_e32 v9, 0x7c00, v7, vcc_lo
	v_and_or_b32 v2, 0x1ff, v3, v2
	v_cmp_ne_u32_e32 vcc_lo, v6, v12
	v_cvt_f64_f32_e32 v[6:7], v4
	v_add_nc_u32_e32 v4, 0xfffffc10, v14
	v_lshrrev_b32_e32 v12, 8, v3
	v_bfe_u32 v14, v3, 20, 11
	v_cndmask_b32_e64 v11, 0, 1, vcc_lo
	v_cmp_ne_u32_e32 vcc_lo, 0, v2
	v_or_b32_e32 v11, v15, v11
	v_cndmask_b32_e64 v2, 0, 1, vcc_lo
	v_cmp_ne_u32_e32 vcc_lo, 0, v16
	v_lshl_or_b32 v15, v4, 12, v13
	v_and_or_b32 v2, 0xffe, v12, v2
	v_cndmask_b32_e64 v16, 0, 1, vcc_lo
	v_sub_nc_u32_e32 v12, 0x3f1, v14
	v_cmp_gt_i32_e32 vcc_lo, 1, v4
	v_lshl_or_b32 v16, v16, 9, 0x7c00
	v_med3_i32 v12, v12, 0, 13
	v_cndmask_b32_e32 v11, v15, v11, vcc_lo
	v_or_b32_e32 v15, 0x1000, v2
	v_cmp_eq_u32_e32 vcc_lo, 0x40f, v18
	v_mul_f64 v[6:7], v[6:7], s[6:7]
	v_lshrrev_b32_e32 v18, v12, v15
	v_cndmask_b32_e32 v9, v9, v16, vcc_lo
	v_and_b32_e32 v16, 7, v11
	v_add_co_u32 v0, vcc_lo, v0, s3
	v_add_co_ci_u32_e32 v1, vcc_lo, s2, v1, vcc_lo
	v_and_or_b32 v21, 0x8000, v8, v9
	v_lshlrev_b32_e32 v8, v12, v18
	v_cmp_lt_i32_e32 vcc_lo, 5, v16
	v_cmp_eq_u32_e64 s0, 3, v16
	v_lshrrev_b32_e32 v9, 2, v11
	v_add_nc_u32_e32 v11, 0xfffffc10, v14
	v_cmp_ne_u32_e64 s1, v8, v15
	v_cvt_f32_f16_e32 v12, v20
	s_or_b32 vcc_lo, s0, vcc_lo
	v_add_co_ci_u32_e32 v14, vcc_lo, 0, v9, vcc_lo
	v_cndmask_b32_e64 v8, 0, 1, s1
	v_cmp_ne_u32_e32 vcc_lo, 0, v13
	v_and_or_b32 v6, 0x1ff, v7, v6
	v_bfe_u32 v16, v7, 20, 11
	v_or_b32_e32 v15, v18, v8
	v_cvt_f64_f32_e32 v[8:9], v12
	v_lshl_or_b32 v12, v11, 12, v2
	v_cndmask_b32_e64 v13, 0, 1, vcc_lo
	v_cmp_gt_i32_e32 vcc_lo, 1, v11
	v_lshl_or_b32 v13, v13, 9, 0x7c00
	v_cndmask_b32_e32 v12, v12, v15, vcc_lo
	v_cmp_ne_u32_e32 vcc_lo, 0, v6
	v_lshrrev_b32_e32 v15, 8, v7
	v_and_b32_e32 v18, 7, v12
	v_cndmask_b32_e64 v6, 0, 1, vcc_lo
	v_cmp_gt_i32_e32 vcc_lo, 31, v4
	v_cmp_eq_u32_e64 s0, 3, v18
	v_and_or_b32 v6, 0xffe, v15, v6
	v_cndmask_b32_e32 v14, 0x7c00, v14, vcc_lo
	v_cmp_eq_u32_e32 vcc_lo, 0x40f, v4
	v_mul_f64 v[8:9], v[8:9], s[6:7]
	v_cndmask_b32_e32 v4, v14, v13, vcc_lo
	v_sub_nc_u32_e32 v13, 0x3f1, v16
	v_cmp_lt_i32_e32 vcc_lo, 5, v18
	v_or_b32_e32 v14, 0x1000, v6
	v_lshrrev_b32_e32 v18, 16, v3
	v_and_or_b32 v4, 0x8000, v10, v4
	v_lshrrev_b32_e32 v10, 2, v12
	v_med3_i32 v13, v13, 0, 13
	s_or_b32 vcc_lo, s0, vcc_lo
	v_and_b32_e32 v12, 0xffff, v21
	v_add_co_ci_u32_e32 v10, vcc_lo, 0, v10, vcc_lo
	v_lshrrev_b32_e32 v15, v13, v14
	v_cmp_ne_u32_e32 vcc_lo, 0, v2
	v_lshl_or_b32 v12, v4, 16, v12
	v_lshlrev_b32_e32 v4, v13, v15
	v_cndmask_b32_e64 v2, 0, 1, vcc_lo
	v_cmp_gt_i32_e32 vcc_lo, 31, v11
	ds_read_b32 v13, v31 offset:2016
	v_and_or_b32 v8, 0x1ff, v9, v8
	v_lshl_or_b32 v2, v2, 9, 0x7c00
	v_cndmask_b32_e32 v10, 0x7c00, v10, vcc_lo
	v_cmp_ne_u32_e32 vcc_lo, v4, v14
	v_add_nc_u32_e32 v14, 0xfffffc10, v16
	v_bfe_u32 v16, v9, 20, 11
	v_cndmask_b32_e64 v4, 0, 1, vcc_lo
	v_cmp_eq_u32_e32 vcc_lo, 0x40f, v11
	v_lshl_or_b32 v11, v14, 12, v6
	v_cndmask_b32_e32 v10, v10, v2, vcc_lo
	v_cmp_ne_u32_e32 vcc_lo, 0, v8
	v_or_b32_e32 v2, v15, v4
	v_cvt_f32_f16_e32 v4, v5
	v_lshrrev_b32_e32 v15, 8, v9
	v_and_or_b32 v18, 0x8000, v18, v10
	v_cndmask_b32_e64 v8, 0, 1, vcc_lo
	v_cmp_gt_i32_e32 vcc_lo, 1, v14
	v_cvt_f64_f32_e32 v[4:5], v4
	v_lshrrev_b32_e32 v9, 16, v9
	v_and_or_b32 v8, 0xffe, v15, v8
	v_cndmask_b32_e32 v11, v11, v2, vcc_lo
	v_sub_nc_u32_e32 v2, 0x3f1, v16
	s_waitcnt lgkmcnt(0)
	v_lshrrev_b32_e32 v15, 16, v13
	v_add_nc_u32_e32 v16, 0xfffffc10, v16
	v_or_b32_e32 v20, 0x1000, v8
	v_and_b32_e32 v19, 7, v11
	v_med3_i32 v21, v2, 0, 13
	v_mul_f16_sdwa v22, v29, v15 dst_sel:DWORD dst_unused:UNUSED_PAD src0_sel:WORD_1 src1_sel:DWORD
	v_add_co_u32 v2, vcc_lo, v0, s3
	v_add_co_ci_u32_e32 v3, vcc_lo, s2, v1, vcc_lo
	v_lshrrev_b32_e32 v23, v21, v20
	v_fmac_f16_e32 v22, v29, v13
	v_cmp_lt_i32_e32 vcc_lo, 5, v19
	v_cmp_eq_u32_e64 s0, 3, v19
	v_lshrrev_b32_e32 v10, 2, v11
	v_lshlrev_b32_e32 v19, v21, v23
	v_cvt_f32_f16_e32 v11, v22
	v_mul_f64 v[4:5], v[4:5], s[6:7]
	s_or_b32 vcc_lo, s0, vcc_lo
	v_mul_f16_sdwa v13, v29, v13 dst_sel:DWORD dst_unused:UNUSED_PAD src0_sel:WORD_1 src1_sel:DWORD
	v_add_co_ci_u32_e32 v21, vcc_lo, 0, v10, vcc_lo
	v_cmp_ne_u32_e32 vcc_lo, v19, v20
	v_cvt_f64_f32_e32 v[10:11], v11
	v_lshl_or_b32 v20, v16, 12, v8
	v_fma_f16 v13, v29, v15, -v13
	v_cndmask_b32_e64 v19, 0, 1, vcc_lo
	v_cmp_ne_u32_e32 vcc_lo, 0, v6
	v_cvt_f32_f16_e32 v13, v13
	v_or_b32_e32 v19, v23, v19
	v_cndmask_b32_e64 v6, 0, 1, vcc_lo
	v_cmp_gt_i32_e32 vcc_lo, 31, v14
	v_lshl_or_b32 v6, v6, 9, 0x7c00
	v_cndmask_b32_e32 v15, 0x7c00, v21, vcc_lo
	v_cmp_gt_i32_e32 vcc_lo, 1, v16
	v_and_or_b32 v4, 0x1ff, v5, v4
	v_bfe_u32 v21, v5, 20, 11
	v_cndmask_b32_e32 v19, v20, v19, vcc_lo
	v_cmp_eq_u32_e32 vcc_lo, 0x40f, v14
	v_mul_f64 v[10:11], v[10:11], s[6:7]
	v_lshrrev_b32_e32 v20, 8, v5
	v_lshrrev_b32_e32 v5, 16, v5
	v_cndmask_b32_e32 v14, v15, v6, vcc_lo
	v_lshrrev_b32_e32 v15, 16, v7
	v_cvt_f64_f32_e32 v[6:7], v13
	v_cmp_ne_u32_e32 vcc_lo, 0, v4
	v_and_b32_e32 v13, 7, v19
	v_and_or_b32 v14, 0x8000, v15, v14
	v_and_b32_e32 v15, 0xffff, v18
	v_cndmask_b32_e64 v4, 0, 1, vcc_lo
	v_cmp_lt_i32_e32 vcc_lo, 5, v13
	v_cmp_eq_u32_e64 s0, 3, v13
	v_sub_nc_u32_e32 v18, 0x3f1, v21
	v_lshl_or_b32 v13, v14, 16, v15
	v_lshrrev_b32_e32 v14, 2, v19
	v_and_or_b32 v4, 0xffe, v20, v4
	s_or_b32 vcc_lo, s0, vcc_lo
	v_med3_i32 v18, v18, 0, 13
	v_add_co_ci_u32_e32 v14, vcc_lo, 0, v14, vcc_lo
	v_or_b32_e32 v15, 0x1000, v4
	v_cmp_ne_u32_e32 vcc_lo, 0, v8
	v_and_or_b32 v10, 0x1ff, v11, v10
	v_lshrrev_b32_e32 v20, 8, v11
	v_mul_f64 v[6:7], v[6:7], s[6:7]
	v_lshrrev_b32_e32 v19, v18, v15
	v_cndmask_b32_e64 v8, 0, 1, vcc_lo
	v_cmp_gt_i32_e32 vcc_lo, 31, v16
	v_bfe_u32 v22, v11, 20, 11
	v_lshrrev_b32_e32 v11, 16, v11
	v_lshlrev_b32_e32 v18, v18, v19
	v_lshl_or_b32 v8, v8, 9, 0x7c00
	v_cndmask_b32_e32 v14, 0x7c00, v14, vcc_lo
	v_cmp_ne_u32_e32 vcc_lo, 0, v10
	v_cndmask_b32_e64 v10, 0, 1, vcc_lo
	v_cmp_ne_u32_e32 vcc_lo, v18, v15
	v_add_nc_u32_e32 v18, 0xfffffc10, v21
	v_and_or_b32 v10, 0xffe, v20, v10
	v_cndmask_b32_e64 v15, 0, 1, vcc_lo
	v_sub_nc_u32_e32 v20, 0x3f1, v22
	v_cmp_eq_u32_e32 vcc_lo, 0x40f, v16
	v_and_or_b32 v6, 0x1ff, v7, v6
	v_or_b32_e32 v16, 0x1000, v10
	v_bfe_u32 v21, v7, 20, 11
	v_cndmask_b32_e32 v8, v14, v8, vcc_lo
	v_or_b32_e32 v14, v19, v15
	v_lshl_or_b32 v15, v18, 12, v4
	v_med3_i32 v19, v20, 0, 13
	v_cmp_gt_i32_e32 vcc_lo, 1, v18
	v_lshrrev_b32_e32 v20, 8, v7
	v_and_or_b32 v8, 0x8000, v9, v8
	v_sub_nc_u32_e32 v9, 0x3f1, v21
	v_lshrrev_b32_e32 v7, 16, v7
	v_cndmask_b32_e32 v14, v15, v14, vcc_lo
	v_lshrrev_b32_e32 v15, v19, v16
	v_cmp_ne_u32_e32 vcc_lo, 0, v6
	v_med3_i32 v9, v9, 0, 13
	v_and_b32_e32 v8, 0xffff, v8
	v_and_b32_e32 v23, 7, v14
	v_lshlrev_b32_e32 v19, v19, v15
	v_cndmask_b32_e64 v6, 0, 1, vcc_lo
	v_lshrrev_b32_e32 v14, 2, v14
	v_cmp_lt_i32_e32 vcc_lo, 5, v23
	v_cmp_ne_u32_e64 s0, v19, v16
	v_and_or_b32 v6, 0xffe, v20, v6
	v_add_nc_u32_e32 v20, 0xfffffc10, v22
	v_cndmask_b32_e64 v16, 0, 1, s0
	v_cmp_eq_u32_e64 s0, 3, v23
	v_or_b32_e32 v19, 0x1000, v6
	v_lshl_or_b32 v22, v20, 12, v10
	v_or_b32_e32 v15, v15, v16
	s_or_b32 vcc_lo, s0, vcc_lo
	v_lshrrev_b32_e32 v16, v9, v19
	v_add_co_ci_u32_e32 v14, vcc_lo, 0, v14, vcc_lo
	v_cmp_gt_i32_e32 vcc_lo, 1, v20
	v_lshlrev_b32_e32 v9, v9, v16
	v_cndmask_b32_e32 v15, v22, v15, vcc_lo
	v_cmp_ne_u32_e32 vcc_lo, 0, v4
	v_cndmask_b32_e64 v4, 0, 1, vcc_lo
	v_cmp_ne_u32_e32 vcc_lo, v9, v19
	v_add_nc_u32_e32 v19, 0xfffffc10, v21
	v_and_b32_e32 v21, 7, v15
	v_lshl_or_b32 v4, v4, 9, 0x7c00
	v_cndmask_b32_e64 v9, 0, 1, vcc_lo
	v_cmp_gt_i32_e32 vcc_lo, 31, v18
	v_cmp_gt_i32_e64 s1, 1, v19
	v_cmp_eq_u32_e64 s0, 3, v21
	v_or_b32_e32 v9, v16, v9
	v_lshl_or_b32 v16, v19, 12, v6
	v_cndmask_b32_e32 v14, 0x7c00, v14, vcc_lo
	v_cmp_lt_i32_e32 vcc_lo, 5, v21
	v_cndmask_b32_e64 v9, v16, v9, s1
	v_cmp_eq_u32_e64 s1, 0x40f, v18
	s_or_b32 vcc_lo, s0, vcc_lo
	v_cndmask_b32_e64 v4, v14, v4, s1
	v_lshrrev_b32_e32 v14, 2, v15
	v_and_b32_e32 v15, 7, v9
	v_lshrrev_b32_e32 v9, 2, v9
	v_cmp_gt_i32_e64 s1, 31, v20
	v_add_co_ci_u32_e32 v14, vcc_lo, 0, v14, vcc_lo
	v_cmp_ne_u32_e32 vcc_lo, 0, v10
	v_cmp_eq_u32_e64 s0, 3, v15
	v_cndmask_b32_e64 v14, 0x7c00, v14, s1
	v_cndmask_b32_e64 v10, 0, 1, vcc_lo
	v_cmp_lt_i32_e32 vcc_lo, 5, v15
	v_lshl_or_b32 v10, v10, 9, 0x7c00
	s_or_b32 vcc_lo, s0, vcc_lo
	v_add_co_ci_u32_e32 v9, vcc_lo, 0, v9, vcc_lo
	v_cmp_ne_u32_e32 vcc_lo, 0, v6
	v_cndmask_b32_e64 v6, 0, 1, vcc_lo
	v_cmp_eq_u32_e32 vcc_lo, 0x40f, v20
	v_lshl_or_b32 v6, v6, 9, 0x7c00
	v_cndmask_b32_e32 v10, v14, v10, vcc_lo
	v_cmp_gt_i32_e32 vcc_lo, 31, v19
	v_and_or_b32 v14, 0x8000, v5, v4
	v_and_or_b32 v10, 0x8000, v11, v10
	v_cndmask_b32_e32 v9, 0x7c00, v9, vcc_lo
	v_cmp_eq_u32_e32 vcc_lo, 0x40f, v19
	v_lshl_or_b32 v11, v14, 16, v8
	v_cndmask_b32_e32 v6, v9, v6, vcc_lo
	v_add_co_u32 v4, vcc_lo, v2, s3
	v_add_co_ci_u32_e32 v5, vcc_lo, s2, v3, vcc_lo
	v_and_or_b32 v8, 0x8000, v7, v6
	v_and_b32_e32 v9, 0xffff, v10
	v_add_co_u32 v6, vcc_lo, v4, s3
	v_add_co_ci_u32_e32 v7, vcc_lo, s2, v5, vcc_lo
	v_lshl_or_b32 v10, v8, 16, v9
	v_add_co_u32 v8, vcc_lo, v6, s3
	v_add_co_ci_u32_e32 v9, vcc_lo, s2, v7, vcc_lo
	global_store_dword v[0:1], v17, off
	global_store_dword v[2:3], v12, off
	;; [unrolled: 1-line block ×5, first 2 shown]
.LBB0_18:
	s_endpgm
	.section	.rodata,"a",@progbits
	.p2align	6, 0x0
	.amdhsa_kernel bluestein_single_back_len588_dim1_half_op_CI_CI
		.amdhsa_group_segment_fixed_size 7056
		.amdhsa_private_segment_fixed_size 0
		.amdhsa_kernarg_size 104
		.amdhsa_user_sgpr_count 6
		.amdhsa_user_sgpr_private_segment_buffer 1
		.amdhsa_user_sgpr_dispatch_ptr 0
		.amdhsa_user_sgpr_queue_ptr 0
		.amdhsa_user_sgpr_kernarg_segment_ptr 1
		.amdhsa_user_sgpr_dispatch_id 0
		.amdhsa_user_sgpr_flat_scratch_init 0
		.amdhsa_user_sgpr_private_segment_size 0
		.amdhsa_wavefront_size32 1
		.amdhsa_uses_dynamic_stack 0
		.amdhsa_system_sgpr_private_segment_wavefront_offset 0
		.amdhsa_system_sgpr_workgroup_id_x 1
		.amdhsa_system_sgpr_workgroup_id_y 0
		.amdhsa_system_sgpr_workgroup_id_z 0
		.amdhsa_system_sgpr_workgroup_info 0
		.amdhsa_system_vgpr_workitem_id 0
		.amdhsa_next_free_vgpr 77
		.amdhsa_next_free_sgpr 20
		.amdhsa_reserve_vcc 1
		.amdhsa_reserve_flat_scratch 0
		.amdhsa_float_round_mode_32 0
		.amdhsa_float_round_mode_16_64 0
		.amdhsa_float_denorm_mode_32 3
		.amdhsa_float_denorm_mode_16_64 3
		.amdhsa_dx10_clamp 1
		.amdhsa_ieee_mode 1
		.amdhsa_fp16_overflow 0
		.amdhsa_workgroup_processor_mode 1
		.amdhsa_memory_ordered 1
		.amdhsa_forward_progress 0
		.amdhsa_shared_vgpr_count 0
		.amdhsa_exception_fp_ieee_invalid_op 0
		.amdhsa_exception_fp_denorm_src 0
		.amdhsa_exception_fp_ieee_div_zero 0
		.amdhsa_exception_fp_ieee_overflow 0
		.amdhsa_exception_fp_ieee_underflow 0
		.amdhsa_exception_fp_ieee_inexact 0
		.amdhsa_exception_int_div_zero 0
	.end_amdhsa_kernel
	.text
.Lfunc_end0:
	.size	bluestein_single_back_len588_dim1_half_op_CI_CI, .Lfunc_end0-bluestein_single_back_len588_dim1_half_op_CI_CI
                                        ; -- End function
	.section	.AMDGPU.csdata,"",@progbits
; Kernel info:
; codeLenInByte = 11312
; NumSgprs: 22
; NumVgprs: 77
; ScratchSize: 0
; MemoryBound: 0
; FloatMode: 240
; IeeeMode: 1
; LDSByteSize: 7056 bytes/workgroup (compile time only)
; SGPRBlocks: 2
; VGPRBlocks: 9
; NumSGPRsForWavesPerEU: 22
; NumVGPRsForWavesPerEU: 77
; Occupancy: 12
; WaveLimiterHint : 1
; COMPUTE_PGM_RSRC2:SCRATCH_EN: 0
; COMPUTE_PGM_RSRC2:USER_SGPR: 6
; COMPUTE_PGM_RSRC2:TRAP_HANDLER: 0
; COMPUTE_PGM_RSRC2:TGID_X_EN: 1
; COMPUTE_PGM_RSRC2:TGID_Y_EN: 0
; COMPUTE_PGM_RSRC2:TGID_Z_EN: 0
; COMPUTE_PGM_RSRC2:TIDIG_COMP_CNT: 0
	.text
	.p2alignl 6, 3214868480
	.fill 48, 4, 3214868480
	.type	__hip_cuid_f0f46c3c2c824f4c,@object ; @__hip_cuid_f0f46c3c2c824f4c
	.section	.bss,"aw",@nobits
	.globl	__hip_cuid_f0f46c3c2c824f4c
__hip_cuid_f0f46c3c2c824f4c:
	.byte	0                               ; 0x0
	.size	__hip_cuid_f0f46c3c2c824f4c, 1

	.ident	"AMD clang version 19.0.0git (https://github.com/RadeonOpenCompute/llvm-project roc-6.4.0 25133 c7fe45cf4b819c5991fe208aaa96edf142730f1d)"
	.section	".note.GNU-stack","",@progbits
	.addrsig
	.addrsig_sym __hip_cuid_f0f46c3c2c824f4c
	.amdgpu_metadata
---
amdhsa.kernels:
  - .args:
      - .actual_access:  read_only
        .address_space:  global
        .offset:         0
        .size:           8
        .value_kind:     global_buffer
      - .actual_access:  read_only
        .address_space:  global
        .offset:         8
        .size:           8
        .value_kind:     global_buffer
      - .actual_access:  read_only
        .address_space:  global
        .offset:         16
        .size:           8
        .value_kind:     global_buffer
      - .actual_access:  read_only
        .address_space:  global
        .offset:         24
        .size:           8
        .value_kind:     global_buffer
      - .actual_access:  read_only
        .address_space:  global
        .offset:         32
        .size:           8
        .value_kind:     global_buffer
      - .offset:         40
        .size:           8
        .value_kind:     by_value
      - .address_space:  global
        .offset:         48
        .size:           8
        .value_kind:     global_buffer
      - .address_space:  global
        .offset:         56
        .size:           8
        .value_kind:     global_buffer
      - .address_space:  global
        .offset:         64
        .size:           8
        .value_kind:     global_buffer
      - .address_space:  global
        .offset:         72
        .size:           8
        .value_kind:     global_buffer
      - .offset:         80
        .size:           4
        .value_kind:     by_value
      - .address_space:  global
        .offset:         88
        .size:           8
        .value_kind:     global_buffer
      - .address_space:  global
        .offset:         96
        .size:           8
        .value_kind:     global_buffer
    .group_segment_fixed_size: 7056
    .kernarg_segment_align: 8
    .kernarg_segment_size: 104
    .language:       OpenCL C
    .language_version:
      - 2
      - 0
    .max_flat_workgroup_size: 252
    .name:           bluestein_single_back_len588_dim1_half_op_CI_CI
    .private_segment_fixed_size: 0
    .sgpr_count:     22
    .sgpr_spill_count: 0
    .symbol:         bluestein_single_back_len588_dim1_half_op_CI_CI.kd
    .uniform_work_group_size: 1
    .uses_dynamic_stack: false
    .vgpr_count:     77
    .vgpr_spill_count: 0
    .wavefront_size: 32
    .workgroup_processor_mode: 1
amdhsa.target:   amdgcn-amd-amdhsa--gfx1030
amdhsa.version:
  - 1
  - 2
...

	.end_amdgpu_metadata
